;; amdgpu-corpus repo=ROCm/rocFFT kind=compiled arch=gfx1201 opt=O3
	.text
	.amdgcn_target "amdgcn-amd-amdhsa--gfx1201"
	.amdhsa_code_object_version 6
	.protected	fft_rtc_fwd_len2401_factors_7_7_7_7_wgs_49_tpt_49_halfLds_dp_op_CI_CI_unitstride_sbrr_dirReg ; -- Begin function fft_rtc_fwd_len2401_factors_7_7_7_7_wgs_49_tpt_49_halfLds_dp_op_CI_CI_unitstride_sbrr_dirReg
	.globl	fft_rtc_fwd_len2401_factors_7_7_7_7_wgs_49_tpt_49_halfLds_dp_op_CI_CI_unitstride_sbrr_dirReg
	.p2align	8
	.type	fft_rtc_fwd_len2401_factors_7_7_7_7_wgs_49_tpt_49_halfLds_dp_op_CI_CI_unitstride_sbrr_dirReg,@function
fft_rtc_fwd_len2401_factors_7_7_7_7_wgs_49_tpt_49_halfLds_dp_op_CI_CI_unitstride_sbrr_dirReg: ; @fft_rtc_fwd_len2401_factors_7_7_7_7_wgs_49_tpt_49_halfLds_dp_op_CI_CI_unitstride_sbrr_dirReg
; %bb.0:
	s_clause 0x2
	s_load_b128 s[8:11], s[0:1], 0x0
	s_load_b128 s[4:7], s[0:1], 0x58
	;; [unrolled: 1-line block ×3, first 2 shown]
	v_mul_u32_u24_e32 v1, 0x53a, v0
	v_mov_b32_e32 v4, 0
	v_mov_b32_e32 v5, 0
	s_delay_alu instid0(VALU_DEP_3) | instskip(NEXT) | instid1(VALU_DEP_1)
	v_lshrrev_b32_e32 v2, 16, v1
	v_dual_mov_b32 v1, 0 :: v_dual_add_nc_u32 v6, ttmp9, v2
	s_delay_alu instid0(VALU_DEP_1) | instskip(SKIP_2) | instid1(VALU_DEP_1)
	v_mov_b32_e32 v7, v1
	s_wait_kmcnt 0x0
	v_cmp_lt_u64_e64 s2, s[10:11], 2
	s_and_b32 vcc_lo, exec_lo, s2
	s_cbranch_vccnz .LBB0_8
; %bb.1:
	s_load_b64 s[2:3], s[0:1], 0x10
	v_mov_b32_e32 v4, 0
	v_mov_b32_e32 v5, 0
	s_add_nc_u64 s[16:17], s[14:15], 8
	s_add_nc_u64 s[18:19], s[12:13], 8
	s_mov_b64 s[20:21], 1
	s_delay_alu instid0(VALU_DEP_1)
	v_dual_mov_b32 v201, v5 :: v_dual_mov_b32 v200, v4
	s_wait_kmcnt 0x0
	s_add_nc_u64 s[22:23], s[2:3], 8
	s_mov_b32 s3, 0
.LBB0_2:                                ; =>This Inner Loop Header: Depth=1
	s_load_b64 s[24:25], s[22:23], 0x0
                                        ; implicit-def: $vgpr202_vgpr203
	s_mov_b32 s2, exec_lo
	s_wait_kmcnt 0x0
	v_or_b32_e32 v2, s25, v7
	s_delay_alu instid0(VALU_DEP_1)
	v_cmpx_ne_u64_e32 0, v[1:2]
	s_wait_alu 0xfffe
	s_xor_b32 s26, exec_lo, s2
	s_cbranch_execz .LBB0_4
; %bb.3:                                ;   in Loop: Header=BB0_2 Depth=1
	s_cvt_f32_u32 s2, s24
	s_cvt_f32_u32 s27, s25
	s_sub_nc_u64 s[30:31], 0, s[24:25]
	s_wait_alu 0xfffe
	s_delay_alu instid0(SALU_CYCLE_1) | instskip(SKIP_1) | instid1(SALU_CYCLE_2)
	s_fmamk_f32 s2, s27, 0x4f800000, s2
	s_wait_alu 0xfffe
	v_s_rcp_f32 s2, s2
	s_delay_alu instid0(TRANS32_DEP_1) | instskip(SKIP_1) | instid1(SALU_CYCLE_2)
	s_mul_f32 s2, s2, 0x5f7ffffc
	s_wait_alu 0xfffe
	s_mul_f32 s27, s2, 0x2f800000
	s_wait_alu 0xfffe
	s_delay_alu instid0(SALU_CYCLE_2) | instskip(SKIP_1) | instid1(SALU_CYCLE_2)
	s_trunc_f32 s27, s27
	s_wait_alu 0xfffe
	s_fmamk_f32 s2, s27, 0xcf800000, s2
	s_cvt_u32_f32 s29, s27
	s_wait_alu 0xfffe
	s_delay_alu instid0(SALU_CYCLE_1) | instskip(SKIP_1) | instid1(SALU_CYCLE_2)
	s_cvt_u32_f32 s28, s2
	s_wait_alu 0xfffe
	s_mul_u64 s[34:35], s[30:31], s[28:29]
	s_wait_alu 0xfffe
	s_mul_hi_u32 s37, s28, s35
	s_mul_i32 s36, s28, s35
	s_mul_hi_u32 s2, s28, s34
	s_mul_i32 s33, s29, s34
	s_wait_alu 0xfffe
	s_add_nc_u64 s[36:37], s[2:3], s[36:37]
	s_mul_hi_u32 s27, s29, s34
	s_mul_hi_u32 s38, s29, s35
	s_add_co_u32 s2, s36, s33
	s_wait_alu 0xfffe
	s_add_co_ci_u32 s2, s37, s27
	s_mul_i32 s34, s29, s35
	s_add_co_ci_u32 s35, s38, 0
	s_wait_alu 0xfffe
	s_add_nc_u64 s[34:35], s[2:3], s[34:35]
	s_wait_alu 0xfffe
	v_add_co_u32 v2, s2, s28, s34
	s_delay_alu instid0(VALU_DEP_1) | instskip(SKIP_1) | instid1(VALU_DEP_1)
	s_cmp_lg_u32 s2, 0
	s_add_co_ci_u32 s29, s29, s35
	v_readfirstlane_b32 s28, v2
	s_wait_alu 0xfffe
	s_delay_alu instid0(VALU_DEP_1)
	s_mul_u64 s[30:31], s[30:31], s[28:29]
	s_wait_alu 0xfffe
	s_mul_hi_u32 s35, s28, s31
	s_mul_i32 s34, s28, s31
	s_mul_hi_u32 s2, s28, s30
	s_mul_i32 s33, s29, s30
	s_wait_alu 0xfffe
	s_add_nc_u64 s[34:35], s[2:3], s[34:35]
	s_mul_hi_u32 s27, s29, s30
	s_mul_hi_u32 s28, s29, s31
	s_wait_alu 0xfffe
	s_add_co_u32 s2, s34, s33
	s_add_co_ci_u32 s2, s35, s27
	s_mul_i32 s30, s29, s31
	s_add_co_ci_u32 s31, s28, 0
	s_wait_alu 0xfffe
	s_add_nc_u64 s[30:31], s[2:3], s[30:31]
	s_wait_alu 0xfffe
	v_add_co_u32 v8, s2, v2, s30
	s_delay_alu instid0(VALU_DEP_1) | instskip(SKIP_1) | instid1(VALU_DEP_1)
	s_cmp_lg_u32 s2, 0
	s_add_co_ci_u32 s2, s29, s31
	v_mul_hi_u32 v12, v6, v8
	s_wait_alu 0xfffe
	v_mad_co_u64_u32 v[2:3], null, v6, s2, 0
	v_mad_co_u64_u32 v[8:9], null, v7, v8, 0
	;; [unrolled: 1-line block ×3, first 2 shown]
	s_delay_alu instid0(VALU_DEP_3) | instskip(SKIP_1) | instid1(VALU_DEP_4)
	v_add_co_u32 v2, vcc_lo, v12, v2
	s_wait_alu 0xfffd
	v_add_co_ci_u32_e32 v3, vcc_lo, 0, v3, vcc_lo
	s_delay_alu instid0(VALU_DEP_2) | instskip(SKIP_1) | instid1(VALU_DEP_2)
	v_add_co_u32 v2, vcc_lo, v2, v8
	s_wait_alu 0xfffd
	v_add_co_ci_u32_e32 v2, vcc_lo, v3, v9, vcc_lo
	s_wait_alu 0xfffd
	v_add_co_ci_u32_e32 v3, vcc_lo, 0, v11, vcc_lo
	s_delay_alu instid0(VALU_DEP_2) | instskip(SKIP_1) | instid1(VALU_DEP_2)
	v_add_co_u32 v8, vcc_lo, v2, v10
	s_wait_alu 0xfffd
	v_add_co_ci_u32_e32 v9, vcc_lo, 0, v3, vcc_lo
	s_delay_alu instid0(VALU_DEP_2) | instskip(SKIP_1) | instid1(VALU_DEP_3)
	v_mul_lo_u32 v10, s25, v8
	v_mad_co_u64_u32 v[2:3], null, s24, v8, 0
	v_mul_lo_u32 v11, s24, v9
	s_delay_alu instid0(VALU_DEP_2) | instskip(NEXT) | instid1(VALU_DEP_2)
	v_sub_co_u32 v2, vcc_lo, v6, v2
	v_add3_u32 v3, v3, v11, v10
	s_delay_alu instid0(VALU_DEP_1) | instskip(SKIP_1) | instid1(VALU_DEP_1)
	v_sub_nc_u32_e32 v10, v7, v3
	s_wait_alu 0xfffd
	v_subrev_co_ci_u32_e64 v10, s2, s25, v10, vcc_lo
	v_add_co_u32 v11, s2, v8, 2
	s_wait_alu 0xf1ff
	v_add_co_ci_u32_e64 v12, s2, 0, v9, s2
	v_sub_co_u32 v13, s2, v2, s24
	v_sub_co_ci_u32_e32 v3, vcc_lo, v7, v3, vcc_lo
	s_wait_alu 0xf1ff
	v_subrev_co_ci_u32_e64 v10, s2, 0, v10, s2
	s_delay_alu instid0(VALU_DEP_3) | instskip(NEXT) | instid1(VALU_DEP_3)
	v_cmp_le_u32_e32 vcc_lo, s24, v13
	v_cmp_eq_u32_e64 s2, s25, v3
	s_wait_alu 0xfffd
	v_cndmask_b32_e64 v13, 0, -1, vcc_lo
	v_cmp_le_u32_e32 vcc_lo, s25, v10
	s_wait_alu 0xfffd
	v_cndmask_b32_e64 v14, 0, -1, vcc_lo
	v_cmp_le_u32_e32 vcc_lo, s24, v2
	;; [unrolled: 3-line block ×3, first 2 shown]
	s_wait_alu 0xfffd
	v_cndmask_b32_e64 v15, 0, -1, vcc_lo
	v_cmp_eq_u32_e32 vcc_lo, s25, v10
	s_wait_alu 0xf1ff
	s_delay_alu instid0(VALU_DEP_2)
	v_cndmask_b32_e64 v2, v15, v2, s2
	s_wait_alu 0xfffd
	v_cndmask_b32_e32 v10, v14, v13, vcc_lo
	v_add_co_u32 v13, vcc_lo, v8, 1
	s_wait_alu 0xfffd
	v_add_co_ci_u32_e32 v14, vcc_lo, 0, v9, vcc_lo
	s_delay_alu instid0(VALU_DEP_3) | instskip(SKIP_1) | instid1(VALU_DEP_2)
	v_cmp_ne_u32_e32 vcc_lo, 0, v10
	s_wait_alu 0xfffd
	v_dual_cndmask_b32 v3, v14, v12 :: v_dual_cndmask_b32 v10, v13, v11
	v_cmp_ne_u32_e32 vcc_lo, 0, v2
	s_wait_alu 0xfffd
	s_delay_alu instid0(VALU_DEP_2)
	v_dual_cndmask_b32 v203, v9, v3 :: v_dual_cndmask_b32 v202, v8, v10
.LBB0_4:                                ;   in Loop: Header=BB0_2 Depth=1
	s_wait_alu 0xfffe
	s_and_not1_saveexec_b32 s2, s26
	s_cbranch_execz .LBB0_6
; %bb.5:                                ;   in Loop: Header=BB0_2 Depth=1
	v_cvt_f32_u32_e32 v2, s24
	s_sub_co_i32 s26, 0, s24
	v_mov_b32_e32 v203, v1
	s_delay_alu instid0(VALU_DEP_2) | instskip(NEXT) | instid1(TRANS32_DEP_1)
	v_rcp_iflag_f32_e32 v2, v2
	v_mul_f32_e32 v2, 0x4f7ffffe, v2
	s_delay_alu instid0(VALU_DEP_1) | instskip(SKIP_1) | instid1(VALU_DEP_1)
	v_cvt_u32_f32_e32 v2, v2
	s_wait_alu 0xfffe
	v_mul_lo_u32 v3, s26, v2
	s_delay_alu instid0(VALU_DEP_1) | instskip(NEXT) | instid1(VALU_DEP_1)
	v_mul_hi_u32 v3, v2, v3
	v_add_nc_u32_e32 v2, v2, v3
	s_delay_alu instid0(VALU_DEP_1) | instskip(NEXT) | instid1(VALU_DEP_1)
	v_mul_hi_u32 v2, v6, v2
	v_mul_lo_u32 v3, v2, s24
	v_add_nc_u32_e32 v8, 1, v2
	s_delay_alu instid0(VALU_DEP_2) | instskip(NEXT) | instid1(VALU_DEP_1)
	v_sub_nc_u32_e32 v3, v6, v3
	v_subrev_nc_u32_e32 v9, s24, v3
	v_cmp_le_u32_e32 vcc_lo, s24, v3
	s_wait_alu 0xfffd
	s_delay_alu instid0(VALU_DEP_2) | instskip(NEXT) | instid1(VALU_DEP_1)
	v_dual_cndmask_b32 v3, v3, v9 :: v_dual_cndmask_b32 v2, v2, v8
	v_cmp_le_u32_e32 vcc_lo, s24, v3
	s_delay_alu instid0(VALU_DEP_2) | instskip(SKIP_1) | instid1(VALU_DEP_1)
	v_add_nc_u32_e32 v8, 1, v2
	s_wait_alu 0xfffd
	v_cndmask_b32_e32 v202, v2, v8, vcc_lo
.LBB0_6:                                ;   in Loop: Header=BB0_2 Depth=1
	s_wait_alu 0xfffe
	s_or_b32 exec_lo, exec_lo, s2
	v_mul_lo_u32 v8, v203, s24
	s_delay_alu instid0(VALU_DEP_2)
	v_mul_lo_u32 v9, v202, s25
	s_load_b64 s[26:27], s[18:19], 0x0
	v_mad_co_u64_u32 v[2:3], null, v202, s24, 0
	s_load_b64 s[24:25], s[16:17], 0x0
	s_add_nc_u64 s[20:21], s[20:21], 1
	s_add_nc_u64 s[16:17], s[16:17], 8
	s_wait_alu 0xfffe
	v_cmp_ge_u64_e64 s2, s[20:21], s[10:11]
	s_add_nc_u64 s[18:19], s[18:19], 8
	s_add_nc_u64 s[22:23], s[22:23], 8
	v_add3_u32 v3, v3, v9, v8
	v_sub_co_u32 v2, vcc_lo, v6, v2
	s_wait_alu 0xfffd
	s_delay_alu instid0(VALU_DEP_2) | instskip(SKIP_2) | instid1(VALU_DEP_1)
	v_sub_co_ci_u32_e32 v3, vcc_lo, v7, v3, vcc_lo
	s_and_b32 vcc_lo, exec_lo, s2
	s_wait_kmcnt 0x0
	v_mul_lo_u32 v6, s26, v3
	v_mul_lo_u32 v7, s27, v2
	v_mad_co_u64_u32 v[4:5], null, s26, v2, v[4:5]
	v_mul_lo_u32 v3, s24, v3
	v_mul_lo_u32 v8, s25, v2
	v_mad_co_u64_u32 v[200:201], null, s24, v2, v[200:201]
	s_delay_alu instid0(VALU_DEP_4) | instskip(NEXT) | instid1(VALU_DEP_2)
	v_add3_u32 v5, v7, v5, v6
	v_add3_u32 v201, v8, v201, v3
	s_wait_alu 0xfffe
	s_cbranch_vccnz .LBB0_9
; %bb.7:                                ;   in Loop: Header=BB0_2 Depth=1
	v_dual_mov_b32 v6, v202 :: v_dual_mov_b32 v7, v203
	s_branch .LBB0_2
.LBB0_8:
	v_dual_mov_b32 v201, v5 :: v_dual_mov_b32 v200, v4
	v_dual_mov_b32 v203, v7 :: v_dual_mov_b32 v202, v6
.LBB0_9:
	s_load_b64 s[0:1], s[0:1], 0x28
	v_mul_hi_u32 v1, 0x539782a, v0
	s_lshl_b64 s[2:3], s[10:11], 3
                                        ; implicit-def: $vgpr2
                                        ; kill: killed $vgpr2
	s_wait_kmcnt 0x0
	v_cmp_gt_u64_e32 vcc_lo, s[0:1], v[202:203]
	v_cmp_le_u64_e64 s0, s[0:1], v[202:203]
	s_delay_alu instid0(VALU_DEP_1)
	s_and_saveexec_b32 s1, s0
	s_wait_alu 0xfffe
	s_xor_b32 s0, exec_lo, s1
	s_cbranch_execz .LBB0_11
; %bb.10:
	v_mul_u32_u24_e32 v1, 49, v1
                                        ; implicit-def: $vgpr4_vgpr5
	s_delay_alu instid0(VALU_DEP_1)
	v_sub_nc_u32_e32 v0, v0, v1
                                        ; implicit-def: $vgpr1
	scratch_store_b32 off, v0, off offset:16 ; 4-byte Folded Spill
                                        ; implicit-def: $vgpr0
.LBB0_11:
	s_wait_alu 0xfffe
	s_or_saveexec_b32 s1, s0
	s_add_nc_u64 s[24:25], s[14:15], s[2:3]
                                        ; implicit-def: $vgpr2_vgpr3
                                        ; implicit-def: $vgpr62_vgpr63
                                        ; implicit-def: $vgpr54_vgpr55
                                        ; implicit-def: $vgpr46_vgpr47
                                        ; implicit-def: $vgpr42_vgpr43
                                        ; implicit-def: $vgpr38_vgpr39
                                        ; implicit-def: $vgpr34_vgpr35
	s_clause 0x2
	scratch_store_b128 off, v[0:3], off
	; meta instruction
	; meta instruction
	;; [unrolled: 1-line block ×14, first 2 shown]
	scratch_store_b128 off, v[0:3], off offset:36
	; meta instruction
	; meta instruction
	;; [unrolled: 1-line block ×7, first 2 shown]
	scratch_store_b128 off, v[0:3], off offset:20
                                        ; implicit-def: $vgpr170_vgpr171
                                        ; implicit-def: $vgpr130_vgpr131
                                        ; implicit-def: $vgpr154_vgpr155
                                        ; implicit-def: $vgpr110_vgpr111
                                        ; implicit-def: $vgpr146_vgpr147
                                        ; implicit-def: $vgpr98_vgpr99
                                        ; implicit-def: $vgpr20_vgpr21
                                        ; implicit-def: $vgpr158_vgpr159
                                        ; implicit-def: $vgpr174_vgpr175
                                        ; implicit-def: $vgpr142_vgpr143
                                        ; implicit-def: $vgpr166_vgpr167
                                        ; implicit-def: $vgpr126_vgpr127
                                        ; implicit-def: $vgpr162_vgpr163
                                        ; implicit-def: $vgpr30_vgpr31
                                        ; implicit-def: $vgpr186_vgpr187
                                        ; implicit-def: $vgpr198_vgpr199
                                        ; implicit-def: $vgpr182_vgpr183
                                        ; implicit-def: $vgpr194_vgpr195
                                        ; implicit-def: $vgpr178_vgpr179
                                        ; implicit-def: $vgpr190_vgpr191
                                        ; implicit-def: $vgpr238_vgpr239
	s_wait_alu 0xfffe
	s_xor_b32 exec_lo, exec_lo, s1
	s_cbranch_execz .LBB0_13
; %bb.12:
	s_add_nc_u64 s[2:3], s[12:13], s[2:3]
	s_load_b64 s[2:3], s[2:3], 0x0
	s_wait_kmcnt 0x0
	v_mul_lo_u32 v6, s3, v202
	v_mul_lo_u32 v7, s2, v203
	v_mad_co_u64_u32 v[2:3], null, s2, v202, 0
	s_delay_alu instid0(VALU_DEP_1) | instskip(SKIP_1) | instid1(VALU_DEP_2)
	v_add3_u32 v3, v3, v7, v6
	v_mul_u32_u24_e32 v6, 49, v1
	v_lshlrev_b64_e32 v[1:2], 4, v[2:3]
	v_lshlrev_b64_e32 v[3:4], 4, v[4:5]
	s_delay_alu instid0(VALU_DEP_3) | instskip(NEXT) | instid1(VALU_DEP_3)
	v_sub_nc_u32_e32 v5, v0, v6
	v_add_co_u32 v0, s0, s4, v1
	s_wait_alu 0xf1ff
	s_delay_alu instid0(VALU_DEP_4) | instskip(NEXT) | instid1(VALU_DEP_3)
	v_add_co_ci_u32_e64 v1, s0, s5, v2, s0
	v_lshlrev_b32_e32 v2, 4, v5
	s_delay_alu instid0(VALU_DEP_3) | instskip(SKIP_1) | instid1(VALU_DEP_3)
	v_add_co_u32 v0, s0, v0, v3
	s_wait_alu 0xf1ff
	v_add_co_ci_u32_e64 v1, s0, v1, v4, s0
	scratch_store_b32 off, v5, off offset:16 ; 4-byte Folded Spill
	v_add_co_u32 v4, s0, v0, v2
	s_wait_alu 0xf1ff
	v_add_co_ci_u32_e64 v5, s0, 0, v1, s0
	s_clause 0xf
	global_load_b128 v[236:239], v[4:5], off
	global_load_b128 v[28:31], v[4:5], off offset:784
	global_load_b128 v[176:179], v[4:5], off offset:10976
	;; [unrolled: 1-line block ×15, first 2 shown]
	s_wait_loadcnt 0x0
	scratch_store_b128 off, v[0:3], off offset:20 ; 16-byte Folded Spill
	s_clause 0xc
	global_load_b128 v[144:147], v[4:5], off offset:12544
	global_load_b128 v[76:79], v[4:5], off offset:13328
	;; [unrolled: 1-line block ×13, first 2 shown]
	s_wait_loadcnt 0x0
	scratch_store_b128 off, v[0:3], off offset:36 ; 16-byte Folded Spill
	s_clause 0x8
	global_load_b128 v[244:247], v[4:5], off offset:3920
	global_load_b128 v[100:103], v[4:5], off offset:14112
	;; [unrolled: 1-line block ×9, first 2 shown]
	s_wait_loadcnt 0x0
	scratch_store_b128 off, v[0:3], off     ; 16-byte Folded Spill
	s_clause 0xa
	global_load_b128 v[84:87], v[4:5], off offset:9408
	global_load_b128 v[32:35], v[4:5], off offset:10192
	global_load_b128 v[192:195], v[4:5], off offset:16464
	global_load_b128 v[36:39], v[4:5], off offset:15680
	global_load_b128 v[88:91], v[4:5], off offset:20384
	global_load_b128 v[40:43], v[4:5], off offset:21168
	global_load_b128 v[196:199], v[4:5], off offset:27440
	global_load_b128 v[44:47], v[4:5], off offset:26656
	global_load_b128 v[104:107], v[4:5], off offset:31360
	global_load_b128 v[52:55], v[4:5], off offset:32144
	global_load_b128 v[60:63], v[4:5], off offset:37632
.LBB0_13:
	s_or_b32 exec_lo, exec_lo, s1
	v_add_f64_e32 v[0:1], v[186:187], v[190:191]
	v_add_f64_e64 v[210:211], v[190:191], -v[186:187]
	s_wait_loadcnt 0x4
	v_add_f64_e32 v[208:209], v[196:197], v[176:177]
	v_add_f64_e32 v[242:243], v[198:199], v[178:179]
	v_add_f64_e64 v[198:199], v[178:179], -v[198:199]
	v_add_f64_e32 v[220:221], v[140:141], v[164:165]
	v_add_f64_e64 v[190:191], v[140:141], -v[164:165]
	v_add_f64_e32 v[222:223], v[168:169], v[96:97]
	v_add_f64_e32 v[248:249], v[170:171], v[98:99]
	v_add_f64_e64 v[8:9], v[96:97], -v[168:169]
	v_add_f64_e64 v[96:97], v[98:99], -v[170:171]
	v_add_f64_e32 v[226:227], v[152:153], v[108:109]
	v_add_f64_e64 v[140:141], v[152:153], -v[108:109]
	v_add_f64_e32 v[254:255], v[118:119], v[122:123]
	;; [unrolled: 2-line block ×5, first 2 shown]
	v_add_f64_e64 v[2:3], v[64:65], -v[136:137]
	v_add_f64_e64 v[64:65], v[66:67], -v[138:139]
	v_add_f64_e32 v[12:13], v[82:83], v[102:103]
	v_add_f64_e64 v[252:253], v[100:101], -v[80:81]
	v_add_f64_e32 v[250:251], v[114:115], v[70:71]
	;; [unrolled: 2-line block ×3, first 2 shown]
	s_wait_loadcnt 0x2
	v_add_f64_e64 v[16:17], v[48:49], -v[104:105]
	s_wait_loadcnt 0x0
	v_add_f64_e32 v[152:153], v[62:63], v[34:35]
	v_add_f64_e64 v[164:165], v[32:33], -v[60:61]
	v_add_f64_e32 v[170:171], v[54:55], v[38:39]
	v_add_f64_e32 v[206:207], v[184:185], v[188:189]
	v_add_f64_e64 v[4:5], v[188:189], -v[184:185]
	v_add_f64_e64 v[234:235], v[182:183], -v[194:195]
	v_add_f64_e32 v[212:213], v[156:157], v[160:161]
	v_add_f64_e32 v[240:241], v[130:131], v[146:147]
	v_add_f64_e64 v[224:225], v[146:147], -v[130:131]
	v_add_f64_e32 v[130:131], v[154:155], v[110:111]
	scratch_store_b64 off, v[0:1], off offset:76 ; 8-byte Folded Spill
	v_add_f64_e64 v[0:1], v[176:177], -v[196:197]
	v_add_f64_e32 v[176:177], v[138:139], v[66:67]
	v_add_f64_e32 v[66:67], v[80:81], v[100:101]
	v_add_f64_e64 v[80:81], v[102:103], -v[82:83]
	v_add_f64_e32 v[82:83], v[112:113], v[68:69]
	v_add_f64_e64 v[68:69], v[114:115], -v[70:71]
	v_add_f64_e64 v[70:71], v[86:87], -v[74:75]
	v_add_f64_e32 v[74:75], v[104:105], v[48:49]
	v_add_f64_e32 v[48:49], v[60:61], v[32:33]
	v_add_f64_e64 v[32:33], v[34:35], -v[62:63]
	v_add_f64_e64 v[34:35], v[38:39], -v[54:55]
	scratch_load_b32 v38, off, off offset:16 ; 4-byte Folded Reload
	v_add_f64_e32 v[196:197], v[180:181], v[192:193]
	v_add_f64_e64 v[228:229], v[154:155], -v[110:111]
	v_add_f64_e32 v[110:111], v[116:117], v[120:121]
	v_add_f64_e64 v[116:117], v[120:121], -v[116:117]
	;; [unrolled: 2-line block ×5, first 2 shown]
	v_add_f64_e64 v[72:73], v[50:51], -v[106:107]
	v_add_f64_e64 v[168:169], v[36:37], -v[52:53]
	v_add_f64_e32 v[134:135], v[46:47], v[42:43]
	v_add_f64_e64 v[132:133], v[46:47], -v[42:43]
	v_add_f64_e64 v[46:47], v[198:199], -v[210:211]
	s_mov_b32 s20, 0xe976ee23
	s_mov_b32 s2, 0x429ad128
	;; [unrolled: 1-line block ×4, first 2 shown]
	scratch_store_b64 off, v[4:5], off offset:52 ; 8-byte Folded Spill
	v_add_f64_e64 v[4:5], v[160:161], -v[156:157]
	v_add_f64_e32 v[160:161], v[106:107], v[50:51]
	v_add_f64_e32 v[50:51], v[52:53], v[36:37]
	v_add_f64_e64 v[42:43], v[234:235], -v[198:199]
	v_add_f64_e32 v[52:53], v[208:209], v[206:207]
	v_add_f64_e64 v[204:205], v[180:181], -v[192:193]
	scratch_store_b64 off, v[0:1], off offset:68 ; 8-byte Folded Spill
	v_add_f64_e32 v[216:217], v[172:173], v[124:125]
	v_add_f64_e64 v[180:181], v[124:125], -v[172:173]
	v_add_f64_e32 v[36:37], v[44:45], v[40:41]
	v_add_f64_e64 v[172:173], v[44:45], -v[40:41]
	;; [unrolled: 2-line block ×3, first 2 shown]
	v_add_f64_e32 v[184:185], v[182:183], v[194:195]
	v_add_f64_e32 v[22:23], v[158:159], v[162:163]
	v_add_f64_e64 v[194:195], v[162:163], -v[158:159]
	v_add_f64_e32 v[84:85], v[56:57], v[88:89]
	v_add_f64_e32 v[162:163], v[58:59], v[90:91]
	v_add_f64_e64 v[54:55], v[206:207], -v[196:197]
	v_add_f64_e64 v[158:159], v[56:57], -v[88:89]
	;; [unrolled: 1-line block ×4, first 2 shown]
	s_mov_b32 s4, 0xb247c609
	s_mov_b32 s16, 0x37e14327
	;; [unrolled: 1-line block ×4, first 2 shown]
	s_wait_alu 0xfffe
	s_mov_b32 s10, s4
	s_mov_b32 s17, 0x3fe948f6
	;; [unrolled: 1-line block ×4, first 2 shown]
	v_add_f64_e64 v[60:61], v[208:209], -v[206:207]
	s_mov_b32 s0, 0x37c3f68c
	v_mul_f64_e32 v[62:63], s[2:3], v[46:47]
	s_mov_b32 s18, 0xaaaaaaaa
	s_mov_b32 s12, 0x5476071b
	;; [unrolled: 1-line block ×7, first 2 shown]
	v_add_f64_e64 v[214:215], v[126:127], -v[174:175]
	v_mul_f64_e32 v[42:43], s[20:21], v[42:43]
	v_add_f64_e32 v[52:53], v[196:197], v[52:53]
	v_add_f64_e64 v[218:219], v[142:143], -v[166:167]
	v_add_f64_e32 v[98:99], v[128:129], v[144:145]
	v_add_f64_e32 v[192:193], v[142:143], v[166:167]
	;; [unrolled: 1-line block ×3, first 2 shown]
	v_add_f64_e64 v[126:127], v[144:145], -v[128:129]
	v_mov_b32_e32 v186, v238
	v_add_f64_e32 v[40:41], v[40:41], v[210:211]
	v_dual_mov_b32 v187, v239 :: v_dual_mov_b32 v174, v246
	v_mov_b32_e32 v175, v247
	v_mul_f64_e32 v[54:55], s[16:17], v[54:55]
	v_add_f64_e64 v[90:91], v[214:215], -v[194:195]
	v_fma_f64 v[46:47], v[46:47], s[2:3], -v[42:43]
	v_fma_f64 v[42:43], v[44:45], s[4:5], v[42:43]
	s_wait_alu 0xfffe
	v_fma_f64 v[44:45], v[44:45], s[10:11], -v[62:63]
	v_add_f64_e32 v[0:1], v[236:237], v[52:53]
	v_mul_f64_e32 v[62:63], s[22:23], v[58:59]
	v_add_f64_e64 v[88:89], v[218:219], -v[214:215]
	v_add_f64_e64 v[100:101], v[194:195], -v[218:219]
	v_add_f64_e32 v[86:87], v[218:219], v[214:215]
	v_fma_f64 v[58:59], v[58:59], s[22:23], v[54:55]
	v_fma_f64 v[54:55], v[60:61], s[14:15], -v[54:55]
	v_mul_f64_e32 v[102:103], s[2:3], v[90:91]
	v_fma_f64 v[46:47], v[40:41], s[0:1], v[46:47]
	v_fma_f64 v[42:43], v[40:41], s[0:1], v[42:43]
	;; [unrolled: 1-line block ×4, first 2 shown]
	v_fma_f64 v[62:63], v[60:61], s[12:13], -v[62:63]
	v_mul_f64_e32 v[88:89], s[20:21], v[88:89]
	v_add_f64_e32 v[86:87], v[86:87], v[194:195]
	s_delay_alu instid0(VALU_DEP_4) | instskip(NEXT) | instid1(VALU_DEP_4)
	v_add_f64_e32 v[52:53], v[58:59], v[44:45]
	v_add_f64_e32 v[58:59], v[62:63], v[44:45]
	;; [unrolled: 1-line block ×3, first 2 shown]
	v_fma_f64 v[90:91], v[90:91], s[2:3], -v[88:89]
	v_fma_f64 v[88:89], v[100:101], s[4:5], v[88:89]
	v_fma_f64 v[100:101], v[100:101], s[10:11], -v[102:103]
	v_add_f64_e32 v[54:55], v[42:43], v[52:53]
	v_add_f64_e64 v[60:61], v[58:59], -v[46:47]
	v_add_f64_e32 v[62:63], v[40:41], v[44:45]
	s_wait_loadcnt 0x0
	v_mad_u32_u24 v124, v38, 56, 0
	ds_store_2addr_b64 v124, v[0:1], v[54:55] offset1:1
	ds_store_2addr_b64 v124, v[62:63], v[60:61] offset0:2 offset1:3
	v_add_f64_e32 v[0:1], v[216:217], v[212:213]
	v_add_f64_e64 v[54:55], v[212:213], -v[220:221]
	v_add_f64_e64 v[62:63], v[220:221], -v[216:217]
	;; [unrolled: 1-line block ×3, first 2 shown]
	v_add_nc_u32_e32 v143, 0xab8, v124
	v_add_nc_u32_e32 v128, 0xac8, v124
	;; [unrolled: 1-line block ×16, first 2 shown]
	v_lshl_add_u32 v125, v38, 3, 0
	v_add_nc_u16 v188, v38, 0x62
	v_add_nc_u16 v39, v38, 0x93
	s_delay_alu instid0(VALU_DEP_3)
	v_add_nc_u32_e32 v189, 0x3000, v125
	v_add_nc_u32_e32 v136, 0x4000, v125
	;; [unrolled: 1-line block ×3, first 2 shown]
	v_add_f64_e32 v[0:1], v[220:221], v[0:1]
	v_mul_f64_e32 v[54:55], s[16:17], v[54:55]
	v_mul_f64_e32 v[102:103], s[22:23], v[62:63]
	s_delay_alu instid0(VALU_DEP_3) | instskip(NEXT) | instid1(VALU_DEP_3)
	v_add_f64_e32 v[28:29], v[28:29], v[0:1]
	v_fma_f64 v[62:63], v[62:63], s[22:23], v[54:55]
	s_delay_alu instid0(VALU_DEP_3)
	v_fma_f64 v[102:103], v[60:61], s[12:13], -v[102:103]
	v_fma_f64 v[54:55], v[60:61], s[14:15], -v[54:55]
	v_fma_f64 v[60:61], v[86:87], s[0:1], v[88:89]
	v_fma_f64 v[88:89], v[86:87], s[0:1], v[90:91]
	;; [unrolled: 1-line block ×4, first 2 shown]
	s_delay_alu instid0(VALU_DEP_1) | instskip(SKIP_2) | instid1(VALU_DEP_3)
	v_add_f64_e32 v[62:63], v[62:63], v[0:1]
	v_add_f64_e32 v[90:91], v[102:103], v[0:1]
	;; [unrolled: 1-line block ×4, first 2 shown]
	s_delay_alu instid0(VALU_DEP_3) | instskip(NEXT) | instid1(VALU_DEP_3)
	v_add_f64_e64 v[100:101], v[90:91], -v[88:89]
	v_add_f64_e32 v[102:103], v[86:87], v[0:1]
	ds_store_2addr_b64 v143, v[28:29], v[54:55] offset1:1
	ds_store_2addr_b64 v128, v[102:103], v[100:101] offset1:1
	v_add_f64_e32 v[28:29], v[88:89], v[90:91]
	v_add_f64_e32 v[54:55], v[98:99], v[222:223]
	v_add_f64_e64 v[90:91], v[228:229], -v[224:225]
	v_add_f64_e64 v[0:1], v[0:1], -v[86:87]
	v_add_f64_e64 v[86:87], v[222:223], -v[226:227]
	v_add_f64_e32 v[100:101], v[228:229], v[224:225]
	v_add_f64_e64 v[102:103], v[96:97], -v[228:229]
	v_add_f64_e64 v[88:89], v[226:227], -v[98:99]
	v_add_f64_e32 v[54:55], v[226:227], v[54:55]
	v_mul_f64_e32 v[90:91], s[20:21], v[90:91]
	v_mul_f64_e32 v[86:87], s[16:17], v[86:87]
	v_add_f64_e32 v[100:101], v[100:101], v[96:97]
	s_delay_alu instid0(VALU_DEP_4) | instskip(NEXT) | instid1(VALU_DEP_4)
	v_add_f64_e32 v[104:105], v[18:19], v[54:55]
	v_fma_f64 v[18:19], v[102:103], s[4:5], v[90:91]
	s_delay_alu instid0(VALU_DEP_2) | instskip(NEXT) | instid1(VALU_DEP_2)
	v_fma_f64 v[54:55], v[54:55], s[18:19], v[104:105]
	v_fma_f64 v[106:107], v[100:101], s[0:1], v[18:19]
	;; [unrolled: 1-line block ×3, first 2 shown]
	v_mul_f64_e32 v[88:89], s[22:23], v[88:89]
	s_delay_alu instid0(VALU_DEP_2) | instskip(SKIP_2) | instid1(VALU_DEP_3)
	v_add_f64_e32 v[112:113], v[18:19], v[54:55]
	v_add_nc_u32_e32 v18, 0xad8, v124
	v_add_nc_u32_e32 v19, 0x1570, v124
	v_add_f64_e32 v[114:115], v[106:107], v[112:113]
	ds_store_2addr_b64 v18, v[28:29], v[0:1] offset1:1
	ds_store_2addr_b64 v19, v[104:105], v[114:115] offset1:1
	v_add_f64_e64 v[0:1], v[224:225], -v[96:97]
	v_add_f64_e64 v[28:29], v[98:99], -v[222:223]
	s_delay_alu instid0(VALU_DEP_2) | instskip(SKIP_1) | instid1(VALU_DEP_3)
	v_fma_f64 v[90:91], v[0:1], s[2:3], -v[90:91]
	v_mul_f64_e32 v[0:1], s[2:3], v[0:1]
	v_fma_f64 v[88:89], v[28:29], s[12:13], -v[88:89]
	v_fma_f64 v[28:29], v[28:29], s[14:15], -v[86:87]
	s_delay_alu instid0(VALU_DEP_4) | instskip(NEXT) | instid1(VALU_DEP_4)
	v_fma_f64 v[86:87], v[100:101], s[0:1], v[90:91]
	v_fma_f64 v[0:1], v[102:103], s[10:11], -v[0:1]
	s_delay_alu instid0(VALU_DEP_4) | instskip(NEXT) | instid1(VALU_DEP_4)
	v_add_f64_e32 v[88:89], v[88:89], v[54:55]
	v_add_f64_e32 v[28:29], v[28:29], v[54:55]
	v_add_f64_e64 v[90:91], v[78:79], -v[76:77]
	s_delay_alu instid0(VALU_DEP_4) | instskip(NEXT) | instid1(VALU_DEP_4)
	v_fma_f64 v[0:1], v[100:101], s[0:1], v[0:1]
	v_add_f64_e64 v[54:55], v[88:89], -v[86:87]
	v_add_f64_e32 v[86:87], v[86:87], v[88:89]
	s_delay_alu instid0(VALU_DEP_4) | instskip(NEXT) | instid1(VALU_DEP_4)
	v_mul_f64_e32 v[90:91], s[20:21], v[90:91]
	v_add_f64_e32 v[88:89], v[0:1], v[28:29]
	v_add_f64_e64 v[0:1], v[28:29], -v[0:1]
	v_add_f64_e64 v[28:29], v[110:111], -v[232:233]
	ds_store_2addr_b64 v129, v[88:89], v[54:55] offset1:1
	ds_store_2addr_b64 v137, v[86:87], v[0:1] offset1:1
	scratch_load_b128 v[218:221], off, off offset:20 th:TH_LOAD_LU ; 16-byte Folded Reload
	v_add_f64_e32 v[0:1], v[230:231], v[110:111]
	v_add_f64_e32 v[88:89], v[78:79], v[76:77]
	v_add_f64_e64 v[76:77], v[76:77], -v[108:109]
	v_add_f64_e64 v[86:87], v[232:233], -v[230:231]
	;; [unrolled: 1-line block ×3, first 2 shown]
	v_mul_f64_e32 v[28:29], s[16:17], v[28:29]
	v_add_f64_e64 v[54:55], v[230:231], -v[110:111]
	v_add_f64_e32 v[0:1], v[232:233], v[0:1]
	v_add_f64_e32 v[88:89], v[88:89], v[108:109]
	v_mul_f64_e32 v[96:97], s[2:3], v[76:77]
	v_fma_f64 v[76:77], v[76:77], s[2:3], -v[90:91]
	v_fma_f64 v[90:91], v[78:79], s[4:5], v[90:91]
	s_delay_alu instid0(VALU_DEP_3)
	v_fma_f64 v[78:79], v[78:79], s[10:11], -v[96:97]
	v_mul_f64_e32 v[96:97], s[22:23], v[86:87]
	v_fma_f64 v[86:87], v[86:87], s[22:23], v[28:29]
	v_fma_f64 v[28:29], v[54:55], s[14:15], -v[28:29]
	v_fma_f64 v[76:77], v[88:89], s[0:1], v[76:77]
	v_fma_f64 v[78:79], v[88:89], s[0:1], v[78:79]
	v_fma_f64 v[96:97], v[54:55], s[12:13], -v[96:97]
	v_fma_f64 v[54:55], v[88:89], s[0:1], v[90:91]
	s_wait_loadcnt 0x0
	v_add_f64_e32 v[6:7], v[218:219], v[0:1]
	v_add_nc_u32_e32 v219, 0x1000, v125
	s_delay_alu instid0(VALU_DEP_2) | instskip(NEXT) | instid1(VALU_DEP_1)
	v_fma_f64 v[0:1], v[0:1], s[18:19], v[6:7]
	v_add_f64_e32 v[86:87], v[86:87], v[0:1]
	v_add_f64_e32 v[88:89], v[96:97], v[0:1]
	;; [unrolled: 1-line block ×3, first 2 shown]
	s_delay_alu instid0(VALU_DEP_3) | instskip(NEXT) | instid1(VALU_DEP_3)
	v_add_f64_e32 v[28:29], v[54:55], v[86:87]
	v_add_f64_e64 v[90:91], v[88:89], -v[76:77]
	s_delay_alu instid0(VALU_DEP_3)
	v_add_f64_e32 v[96:97], v[78:79], v[0:1]
	v_add_f64_e64 v[0:1], v[0:1], -v[78:79]
	v_add_f64_e64 v[78:79], v[82:83], -v[66:67]
	ds_store_2addr_b64 v197, v[6:7], v[28:29] offset1:1
	ds_store_2addr_b64 v198, v[96:97], v[90:91] offset1:1
	scratch_load_b128 v[222:225], off, off offset:36 th:TH_LOAD_LU ; 16-byte Folded Reload
	v_add_f64_e32 v[28:29], v[66:67], v[92:93]
	v_add_f64_e32 v[6:7], v[76:77], v[88:89]
	v_add_f64_e64 v[76:77], v[92:93], -v[82:83]
	v_add_f64_e64 v[88:89], v[68:69], -v[80:81]
	s_delay_alu instid0(VALU_DEP_4) | instskip(SKIP_4) | instid1(VALU_DEP_4)
	v_add_f64_e32 v[28:29], v[82:83], v[28:29]
	v_add_f64_e32 v[82:83], v[68:69], v[80:81]
	v_add_f64_e64 v[68:69], v[64:65], -v[68:69]
	v_mul_f64_e32 v[76:77], s[16:17], v[76:77]
	v_mul_f64_e32 v[88:89], s[20:21], v[88:89]
	v_add_f64_e32 v[82:83], v[82:83], v[64:65]
	s_delay_alu instid0(VALU_DEP_3) | instskip(NEXT) | instid1(VALU_DEP_3)
	v_fma_f64 v[90:91], v[78:79], s[22:23], v[76:77]
	v_fma_f64 v[96:97], v[68:69], s[4:5], v[88:89]
	s_delay_alu instid0(VALU_DEP_1) | instskip(SKIP_2) | instid1(VALU_DEP_1)
	v_fma_f64 v[96:97], v[82:83], s[0:1], v[96:97]
	s_wait_loadcnt 0x0
	v_add_f64_e32 v[24:25], v[222:223], v[28:29]
	v_fma_f64 v[28:29], v[28:29], s[18:19], v[24:25]
	s_delay_alu instid0(VALU_DEP_1) | instskip(NEXT) | instid1(VALU_DEP_1)
	v_add_f64_e32 v[90:91], v[90:91], v[28:29]
	v_add_f64_e32 v[98:99], v[96:97], v[90:91]
	ds_store_2addr_b64 v199, v[6:7], v[0:1] offset1:1
	ds_store_2addr_b64 v206, v[24:25], v[98:99] offset1:1
	v_add_f64_e64 v[6:7], v[80:81], -v[64:65]
	v_add_f64_e64 v[0:1], v[66:67], -v[92:93]
	v_mul_f64_e32 v[24:25], s[22:23], v[78:79]
	s_delay_alu instid0(VALU_DEP_3) | instskip(SKIP_1) | instid1(VALU_DEP_3)
	v_fma_f64 v[64:65], v[6:7], s[2:3], -v[88:89]
	v_mul_f64_e32 v[6:7], s[2:3], v[6:7]
	v_fma_f64 v[24:25], v[0:1], s[12:13], -v[24:25]
	v_fma_f64 v[0:1], v[0:1], s[14:15], -v[76:77]
	s_delay_alu instid0(VALU_DEP_3) | instskip(NEXT) | instid1(VALU_DEP_3)
	v_fma_f64 v[6:7], v[68:69], s[10:11], -v[6:7]
	v_add_f64_e32 v[24:25], v[24:25], v[28:29]
	s_delay_alu instid0(VALU_DEP_3) | instskip(SKIP_1) | instid1(VALU_DEP_4)
	v_add_f64_e32 v[0:1], v[0:1], v[28:29]
	v_fma_f64 v[28:29], v[82:83], s[0:1], v[64:65]
	v_fma_f64 v[6:7], v[82:83], s[0:1], v[6:7]
	s_delay_alu instid0(VALU_DEP_2) | instskip(SKIP_1) | instid1(VALU_DEP_3)
	v_add_f64_e64 v[64:65], v[24:25], -v[28:29]
	v_add_f64_e32 v[24:25], v[28:29], v[24:25]
	v_add_f64_e32 v[28:29], v[6:7], v[0:1]
	v_add_f64_e64 v[0:1], v[0:1], -v[6:7]
	v_add_f64_e64 v[6:7], v[44:45], -v[40:41]
	;; [unrolled: 1-line block ×4, first 2 shown]
	ds_store_2addr_b64 v208, v[28:29], v[64:65] offset1:1
	ds_store_2addr_b64 v209, v[24:25], v[0:1] offset1:1
	v_add_f64_e32 v[0:1], v[46:47], v[58:59]
	v_add_f64_e64 v[24:25], v[52:53], -v[42:43]
	v_add_f64_e64 v[42:43], v[62:63], -v[60:61]
	;; [unrolled: 1-line block ×7, first 2 shown]
	v_add_f64_e32 v[54:55], v[56:57], v[72:73]
	v_add_f64_e64 v[56:57], v[70:71], -v[56:57]
	ds_store_2addr_b64 v124, v[0:1], v[6:7] offset0:4 offset1:5
	ds_store_b64 v124, v[24:25] offset:48
	ds_store_b64 v124, v[42:43] offset:2792
	;; [unrolled: 1-line block ×5, first 2 shown]
	scratch_load_b128 v[215:218], off, off th:TH_LOAD_LU ; 16-byte Folded Reload
	v_add_f64_e32 v[0:1], v[74:75], v[94:95]
	v_add_f64_e64 v[6:7], v[74:75], -v[94:95]
	v_mul_f64_e32 v[24:25], s[16:17], v[28:29]
	v_mul_f64_e32 v[28:29], s[22:23], v[40:41]
	;; [unrolled: 1-line block ×3, first 2 shown]
	v_add_f64_e32 v[54:55], v[54:55], v[70:71]
	v_add_f64_e32 v[0:1], v[84:85], v[0:1]
	v_fma_f64 v[40:41], v[40:41], s[22:23], v[24:25]
	v_fma_f64 v[24:25], v[6:7], s[14:15], -v[24:25]
	v_fma_f64 v[6:7], v[6:7], s[12:13], -v[28:29]
	v_mul_f64_e32 v[28:29], s[20:21], v[58:59]
	v_fma_f64 v[42:43], v[56:57], s[10:11], -v[42:43]
	v_add_f64_e32 v[10:11], v[244:245], v[0:1]
	s_delay_alu instid0(VALU_DEP_3) | instskip(SKIP_1) | instid1(VALU_DEP_3)
	v_fma_f64 v[44:45], v[56:57], s[4:5], v[28:29]
	v_fma_f64 v[28:29], v[60:61], s[2:3], -v[28:29]
	v_fma_f64 v[0:1], v[0:1], s[18:19], v[10:11]
	ds_store_b64 v124, v[10:11] offset:13720
	v_fma_f64 v[28:29], v[54:55], s[0:1], v[28:29]
	v_add_f64_e32 v[40:41], v[40:41], v[0:1]
	v_add_f64_e32 v[24:25], v[24:25], v[0:1]
	;; [unrolled: 1-line block ×3, first 2 shown]
	v_fma_f64 v[6:7], v[54:55], s[0:1], v[42:43]
	v_fma_f64 v[42:43], v[54:55], s[0:1], v[44:45]
	v_add_f64_e32 v[44:45], v[50:51], v[48:49]
	s_delay_alu instid0(VALU_DEP_4)
	v_add_f64_e64 v[10:11], v[0:1], -v[28:29]
	v_add_f64_e32 v[0:1], v[28:29], v[0:1]
	v_add_f64_e32 v[28:29], v[6:7], v[24:25]
	;; [unrolled: 1-line block ×4, first 2 shown]
	ds_store_2addr_b64 v195, v[46:47], v[28:29] offset1:1
	ds_store_2addr_b64 v196, v[10:11], v[0:1] offset1:1
	v_add_f64_e64 v[0:1], v[24:25], -v[6:7]
	v_add_f64_e64 v[6:7], v[40:41], -v[42:43]
	;; [unrolled: 1-line block ×3, first 2 shown]
	v_add_f64_e32 v[24:25], v[132:133], v[34:35]
	v_add_f64_e64 v[28:29], v[132:133], -v[34:35]
	v_add_f64_e64 v[34:35], v[34:35], -v[32:33]
	v_add_nc_u32_e32 v41, 0x2800, v125
	s_delay_alu instid0(VALU_DEP_1)
	v_dual_mov_b32 v167, v41 :: v_dual_add_nc_u32 v40, 0x2400, v125
	v_add_f64_e32 v[24:25], v[24:25], v[32:33]
	v_mul_f64_e32 v[28:29], s[20:21], v[28:29]
	s_wait_loadcnt 0x0
	v_add_f64_e32 v[14:15], v[215:216], v[44:45]
	ds_store_2addr_b64 v166, v[0:1], v[6:7] offset1:1
	v_add_f64_e64 v[6:7], v[48:49], -v[36:37]
	v_add_f64_e64 v[0:1], v[50:51], -v[48:49]
	;; [unrolled: 1-line block ×3, first 2 shown]
	v_mul_f64_e32 v[32:33], s[22:23], v[10:11]
	v_add_nc_u32_e32 v132, 0x3800, v125
	s_delay_alu instid0(VALU_DEP_1) | instskip(SKIP_2) | instid1(VALU_DEP_1)
	v_mov_b32_e32 v194, v132
	ds_store_b64 v124, v[14:15] offset:16464
	v_mul_f64_e32 v[6:7], s[16:17], v[6:7]
	v_fma_f64 v[10:11], v[10:11], s[22:23], v[6:7]
	v_fma_f64 v[6:7], v[0:1], s[14:15], -v[6:7]
	v_fma_f64 v[0:1], v[0:1], s[12:13], -v[32:33]
	v_mul_f64_e32 v[32:33], s[2:3], v[34:35]
	s_delay_alu instid0(VALU_DEP_1) | instskip(SKIP_3) | instid1(VALU_DEP_4)
	v_fma_f64 v[32:33], v[36:37], s[10:11], -v[32:33]
	v_fma_f64 v[36:37], v[36:37], s[4:5], v[28:29]
	v_fma_f64 v[28:29], v[34:35], s[2:3], -v[28:29]
	v_fma_f64 v[34:35], v[44:45], s[18:19], v[14:15]
	v_fma_f64 v[32:33], v[24:25], s[0:1], v[32:33]
	s_delay_alu instid0(VALU_DEP_3) | instskip(NEXT) | instid1(VALU_DEP_3)
	v_fma_f64 v[28:29], v[24:25], s[0:1], v[28:29]
	v_add_f64_e32 v[10:11], v[10:11], v[34:35]
	v_add_f64_e32 v[6:7], v[6:7], v[34:35]
	;; [unrolled: 1-line block ×3, first 2 shown]
	v_fma_f64 v[24:25], v[24:25], s[0:1], v[36:37]
	v_add_nc_u32_e32 v36, 0xc00, v125
	v_add_nc_u32_e32 v37, 0x1800, v125
	s_delay_alu instid0(VALU_DEP_1)
	v_mov_b32_e32 v139, v37
	v_add_f64_e64 v[14:15], v[0:1], -v[28:29]
	v_add_f64_e32 v[0:1], v[28:29], v[0:1]
	v_add_f64_e32 v[28:29], v[32:33], v[6:7]
	v_add_f64_e32 v[34:35], v[24:25], v[10:11]
	ds_store_2addr_b64 v210, v[34:35], v[28:29] offset1:1
	ds_store_2addr_b64 v211, v[14:15], v[0:1] offset1:1
	v_add_f64_e64 v[0:1], v[6:7], -v[32:33]
	v_add_f64_e64 v[6:7], v[10:11], -v[24:25]
	;; [unrolled: 1-line block ×5, first 2 shown]
	s_load_b64 s[24:25], s[24:25], 0x0
	ds_store_2addr_b64 v212, v[0:1], v[6:7] offset1:1
	v_add_f64_e32 v[0:1], v[182:183], v[22:23]
	v_add_f64_e64 v[6:7], v[22:23], -v[192:193]
	v_add_f64_e32 v[22:23], v[190:191], v[180:181]
	v_mul_f64_e32 v[32:33], s[22:23], v[10:11]
	global_wb scope:SCOPE_SE
	s_wait_storecnt_dscnt 0x0
	s_wait_kmcnt 0x0
	s_barrier_signal -1
	s_barrier_wait -1
	global_inv scope:SCOPE_SE
	v_add_f64_e32 v[0:1], v[192:193], v[0:1]
	v_mul_f64_e32 v[6:7], s[16:17], v[6:7]
	v_add_f64_e32 v[22:23], v[22:23], v[4:5]
	v_fma_f64 v[32:33], v[14:15], s[12:13], -v[32:33]
	s_delay_alu instid0(VALU_DEP_4)
	v_add_f64_e32 v[24:25], v[30:31], v[0:1]
	v_add_f64_e64 v[30:31], v[4:5], -v[190:191]
	v_add_f64_e64 v[4:5], v[180:181], -v[4:5]
	v_fma_f64 v[10:11], v[10:11], s[22:23], v[6:7]
	v_fma_f64 v[6:7], v[14:15], s[14:15], -v[6:7]
	v_mul_f64_e32 v[14:15], s[20:21], v[28:29]
	s_delay_alu instid0(VALU_DEP_4) | instskip(NEXT) | instid1(VALU_DEP_2)
	v_mul_f64_e32 v[28:29], s[2:3], v[4:5]
	v_fma_f64 v[4:5], v[4:5], s[2:3], -v[14:15]
	s_delay_alu instid0(VALU_DEP_2) | instskip(SKIP_2) | instid1(VALU_DEP_3)
	v_fma_f64 v[28:29], v[30:31], s[10:11], -v[28:29]
	v_fma_f64 v[30:31], v[30:31], s[4:5], v[14:15]
	v_fma_f64 v[14:15], v[0:1], s[18:19], v[24:25]
	;; [unrolled: 1-line block ×3, first 2 shown]
	v_add_nc_u32_e32 v29, 0x1c00, v125
	s_delay_alu instid0(VALU_DEP_3)
	v_add_f64_e32 v[0:1], v[10:11], v[14:15]
	v_fma_f64 v[10:11], v[22:23], s[0:1], v[30:31]
	v_add_f64_e32 v[180:181], v[32:33], v[14:15]
	v_add_f64_e32 v[182:183], v[6:7], v[14:15]
	v_fma_f64 v[22:23], v[22:23], s[0:1], v[4:5]
	v_add_nc_u32_e32 v30, 0x800, v125
	v_add_nc_u32_e32 v28, 0x3400, v125
	ds_load_b64 v[14:15], v125 offset:18816
	ds_load_2addr_b64 v[32:35], v125 offset1:49
	ds_load_2addr_b64 v[144:147], v30 offset0:38 offset1:87
	ds_load_2addr_b64 v[112:115], v219 offset0:174 offset1:223
	;; [unrolled: 1-line block ×18, first 2 shown]
	v_mov_b32_e32 v37, v40
	s_wait_dscnt 0x1
	scratch_store_b128 off, v[48:51], off offset:92 ; 16-byte Folded Spill
	ds_load_2addr_b64 v[60:63], v189 offset0:32 offset1:81
	ds_load_2addr_b64 v[56:59], v136 offset0:206 offset1:255
	;; [unrolled: 1-line block ×5, first 2 shown]
	global_wb scope:SCOPE_SE
	s_wait_storecnt_dscnt 0x0
	s_barrier_signal -1
	s_barrier_wait -1
	global_inv scope:SCOPE_SE
	v_add_f64_e64 v[192:193], v[0:1], -v[10:11]
	v_add_f64_e32 v[0:1], v[10:11], v[0:1]
	v_add_f64_e64 v[213:214], v[182:183], -v[190:191]
	v_add_f64_e32 v[215:216], v[22:23], v[180:181]
	ds_store_2addr_b64 v143, v[24:25], v[192:193] offset1:1
	ds_store_2addr_b64 v128, v[213:214], v[215:216] offset1:1
	v_add_f64_e32 v[142:143], v[240:241], v[248:249]
	v_add_f64_e64 v[22:23], v[180:181], -v[22:23]
	v_add_f64_e32 v[24:25], v[190:191], v[182:183]
	v_add_f64_e64 v[180:181], v[248:249], -v[130:131]
	v_add_f64_e64 v[190:191], v[140:141], -v[126:127]
	v_add_f64_e32 v[182:183], v[140:141], v[126:127]
	v_add_f64_e64 v[140:141], v[8:9], -v[140:141]
	v_add_f64_e32 v[142:143], v[130:131], v[142:143]
	v_add_f64_e64 v[130:131], v[130:131], -v[240:241]
	v_mul_f64_e32 v[180:181], s[16:17], v[180:181]
	v_mul_f64_e32 v[190:191], s[20:21], v[190:191]
	v_add_f64_e32 v[182:183], v[182:183], v[8:9]
	v_add_f64_e32 v[20:21], v[20:21], v[142:143]
	s_delay_alu instid0(VALU_DEP_4) | instskip(NEXT) | instid1(VALU_DEP_4)
	v_fma_f64 v[192:193], v[130:131], s[22:23], v[180:181]
	v_fma_f64 v[213:214], v[140:141], s[4:5], v[190:191]
	s_delay_alu instid0(VALU_DEP_3) | instskip(NEXT) | instid1(VALU_DEP_2)
	v_fma_f64 v[142:143], v[142:143], s[18:19], v[20:21]
	v_fma_f64 v[213:214], v[182:183], s[0:1], v[213:214]
	s_delay_alu instid0(VALU_DEP_2) | instskip(NEXT) | instid1(VALU_DEP_1)
	v_add_f64_e32 v[192:193], v[192:193], v[142:143]
	v_add_f64_e64 v[215:216], v[192:193], -v[213:214]
	ds_store_2addr_b64 v18, v[22:23], v[24:25] offset1:1
	ds_store_2addr_b64 v19, v[20:21], v[215:216] offset1:1
	v_add_f64_e64 v[20:21], v[126:127], -v[8:9]
	v_add_f64_e64 v[18:19], v[240:241], -v[248:249]
	v_mul_f64_e32 v[22:23], s[22:23], v[130:131]
	v_add_f64_e32 v[10:11], v[213:214], v[192:193]
	s_delay_alu instid0(VALU_DEP_4) | instskip(SKIP_1) | instid1(VALU_DEP_4)
	v_fma_f64 v[24:25], v[20:21], s[2:3], -v[190:191]
	v_mul_f64_e32 v[20:21], s[2:3], v[20:21]
	v_fma_f64 v[22:23], v[18:19], s[12:13], -v[22:23]
	v_fma_f64 v[18:19], v[18:19], s[14:15], -v[180:181]
	s_delay_alu instid0(VALU_DEP_4) | instskip(NEXT) | instid1(VALU_DEP_4)
	v_fma_f64 v[24:25], v[182:183], s[0:1], v[24:25]
	v_fma_f64 v[20:21], v[140:141], s[10:11], -v[20:21]
	s_delay_alu instid0(VALU_DEP_4) | instskip(NEXT) | instid1(VALU_DEP_4)
	v_add_f64_e32 v[22:23], v[22:23], v[142:143]
	v_add_f64_e32 v[18:19], v[18:19], v[142:143]
	s_delay_alu instid0(VALU_DEP_3) | instskip(NEXT) | instid1(VALU_DEP_3)
	v_fma_f64 v[20:21], v[182:183], s[0:1], v[20:21]
	v_add_f64_e32 v[126:127], v[24:25], v[22:23]
	v_add_f64_e64 v[22:23], v[22:23], -v[24:25]
	s_delay_alu instid0(VALU_DEP_3)
	v_add_f64_e64 v[24:25], v[18:19], -v[20:21]
	v_add_f64_e32 v[18:19], v[20:21], v[18:19]
	ds_store_2addr_b64 v129, v[24:25], v[126:127] offset1:1
	ds_store_2addr_b64 v137, v[22:23], v[18:19] offset1:1
	v_add_f64_e32 v[18:19], v[120:121], v[254:255]
	v_add_f64_e64 v[20:21], v[254:255], -v[26:27]
	v_add_f64_e64 v[22:23], v[26:27], -v[120:121]
	;; [unrolled: 1-line block ×3, first 2 shown]
	v_add_f64_e32 v[120:121], v[122:123], v[118:119]
	v_add_f64_e64 v[126:127], v[122:123], -v[118:119]
	v_add_f64_e64 v[122:123], v[116:117], -v[122:123]
	v_mov_b32_e32 v137, v139
	v_add_f64_e32 v[18:19], v[26:27], v[18:19]
	v_mul_f64_e32 v[20:21], s[16:17], v[20:21]
	v_add_f64_e32 v[120:121], v[120:121], v[116:117]
	v_add_f64_e64 v[116:117], v[118:119], -v[116:117]
	v_mul_f64_e32 v[118:119], s[22:23], v[22:23]
	v_add_f64_e32 v[8:9], v[220:221], v[18:19]
	v_fma_f64 v[22:23], v[22:23], s[22:23], v[20:21]
	v_fma_f64 v[20:21], v[24:25], s[14:15], -v[20:21]
	s_delay_alu instid0(VALU_DEP_4) | instskip(SKIP_3) | instid1(VALU_DEP_3)
	v_fma_f64 v[118:119], v[24:25], s[12:13], -v[118:119]
	v_mul_f64_e32 v[24:25], s[20:21], v[126:127]
	v_mul_f64_e32 v[126:127], s[2:3], v[116:117]
	v_fma_f64 v[18:19], v[18:19], s[18:19], v[8:9]
	v_fma_f64 v[116:117], v[116:117], s[2:3], -v[24:25]
	v_fma_f64 v[24:25], v[122:123], s[4:5], v[24:25]
	s_delay_alu instid0(VALU_DEP_4) | instskip(NEXT) | instid1(VALU_DEP_4)
	v_fma_f64 v[122:123], v[122:123], s[10:11], -v[126:127]
	v_add_f64_e32 v[22:23], v[22:23], v[18:19]
	v_add_f64_e32 v[118:119], v[118:119], v[18:19]
	;; [unrolled: 1-line block ×3, first 2 shown]
	v_fma_f64 v[20:21], v[120:121], s[0:1], v[24:25]
	v_fma_f64 v[24:25], v[120:121], s[0:1], v[116:117]
	;; [unrolled: 1-line block ×3, first 2 shown]
	s_delay_alu instid0(VALU_DEP_3) | instskip(NEXT) | instid1(VALU_DEP_3)
	v_add_f64_e64 v[120:121], v[22:23], -v[20:21]
	v_add_f64_e32 v[122:123], v[24:25], v[118:119]
	s_delay_alu instid0(VALU_DEP_3)
	v_add_f64_e64 v[126:127], v[18:19], -v[116:117]
	ds_store_2addr_b64 v197, v[8:9], v[120:121] offset1:1
	ds_store_2addr_b64 v198, v[126:127], v[122:123] offset1:1
	v_add_f64_e64 v[8:9], v[118:119], -v[24:25]
	v_add_f64_e32 v[24:25], v[12:13], v[176:177]
	v_add_f64_e32 v[18:19], v[116:117], v[18:19]
	v_add_f64_e64 v[116:117], v[176:177], -v[250:251]
	v_add_f64_e64 v[122:123], v[148:149], -v[252:253]
	;; [unrolled: 1-line block ×3, first 2 shown]
	v_add_f64_e32 v[120:121], v[148:149], v[252:253]
	v_add_f64_e64 v[126:127], v[2:3], -v[148:149]
	v_add_f64_e32 v[20:21], v[20:21], v[22:23]
	v_add_f64_e32 v[24:25], v[250:251], v[24:25]
	v_mul_f64_e32 v[116:117], s[16:17], v[116:117]
	v_mul_f64_e32 v[122:123], s[20:21], v[122:123]
	v_add_f64_e32 v[120:121], v[120:121], v[2:3]
	s_delay_alu instid0(VALU_DEP_4) | instskip(NEXT) | instid1(VALU_DEP_4)
	v_add_f64_e32 v[26:27], v[224:225], v[24:25]
	v_fma_f64 v[128:129], v[118:119], s[22:23], v[116:117]
	s_delay_alu instid0(VALU_DEP_4) | instskip(NEXT) | instid1(VALU_DEP_3)
	v_fma_f64 v[130:131], v[126:127], s[4:5], v[122:123]
	v_fma_f64 v[24:25], v[24:25], s[18:19], v[26:27]
	s_delay_alu instid0(VALU_DEP_2) | instskip(NEXT) | instid1(VALU_DEP_2)
	v_fma_f64 v[130:131], v[120:121], s[0:1], v[130:131]
	v_add_f64_e32 v[128:129], v[128:129], v[24:25]
	s_delay_alu instid0(VALU_DEP_1)
	v_add_f64_e64 v[140:141], v[128:129], -v[130:131]
	ds_store_2addr_b64 v199, v[8:9], v[18:19] offset1:1
	ds_store_2addr_b64 v206, v[26:27], v[140:141] offset1:1
	v_add_f64_e64 v[8:9], v[12:13], -v[176:177]
	v_add_f64_e64 v[18:19], v[252:253], -v[2:3]
	v_mul_f64_e32 v[26:27], s[22:23], v[118:119]
	v_add_f64_e32 v[22:23], v[130:131], v[128:129]
	s_delay_alu instid0(VALU_DEP_2) | instskip(SKIP_3) | instid1(VALU_DEP_4)
	v_fma_f64 v[26:27], v[8:9], s[12:13], -v[26:27]
	v_fma_f64 v[8:9], v[8:9], s[14:15], -v[116:117]
	;; [unrolled: 1-line block ×3, first 2 shown]
	v_mul_f64_e32 v[18:19], s[2:3], v[18:19]
	v_add_f64_e32 v[26:27], v[26:27], v[24:25]
	s_delay_alu instid0(VALU_DEP_4) | instskip(NEXT) | instid1(VALU_DEP_4)
	v_add_f64_e32 v[8:9], v[8:9], v[24:25]
	v_fma_f64 v[24:25], v[120:121], s[0:1], v[116:117]
	s_delay_alu instid0(VALU_DEP_4) | instskip(NEXT) | instid1(VALU_DEP_2)
	v_fma_f64 v[18:19], v[126:127], s[10:11], -v[18:19]
	v_add_f64_e32 v[116:117], v[24:25], v[26:27]
	s_delay_alu instid0(VALU_DEP_2) | instskip(SKIP_1) | instid1(VALU_DEP_2)
	v_fma_f64 v[18:19], v[120:121], s[0:1], v[18:19]
	v_add_f64_e64 v[24:25], v[26:27], -v[24:25]
	v_add_f64_e64 v[26:27], v[8:9], -v[18:19]
	v_add_f64_e32 v[8:9], v[18:19], v[8:9]
	ds_store_2addr_b64 v208, v[26:27], v[116:117] offset1:1
	ds_store_2addr_b64 v209, v[24:25], v[8:9] offset1:1
	scratch_load_b64 v[12:13], off, off offset:76 th:TH_LOAD_LU ; 8-byte Folded Reload
	v_add_f64_e64 v[24:25], v[184:185], -v[242:243]
	v_mov_b32_e32 v208, v167
	scratch_load_b64 v[122:123], off, off offset:52 th:TH_LOAD_LU ; 8-byte Folded Reload
	v_mul_f64_e32 v[126:127], s[22:23], v[24:25]
	s_wait_loadcnt 0x1
	v_add_f64_e32 v[8:9], v[242:243], v[12:13]
	v_add_f64_e64 v[18:19], v[12:13], -v[184:185]
	v_add_f64_e64 v[26:27], v[242:243], -v[12:13]
	scratch_load_b64 v[12:13], off, off offset:68 th:TH_LOAD_LU ; 8-byte Folded Reload
	s_wait_loadcnt 0x1
	v_add_f64_e64 v[120:121], v[122:123], -v[204:205]
	v_add_f64_e32 v[8:9], v[184:185], v[8:9]
	v_mul_f64_e32 v[18:19], s[16:17], v[18:19]
	v_fma_f64 v[126:127], v[26:27], s[12:13], -v[126:127]
	s_delay_alu instid0(VALU_DEP_3) | instskip(NEXT) | instid1(VALU_DEP_3)
	v_add_f64_e32 v[2:3], v[186:187], v[8:9]
	v_fma_f64 v[24:25], v[24:25], s[22:23], v[18:19]
	v_fma_f64 v[18:19], v[26:27], s[14:15], -v[18:19]
	s_delay_alu instid0(VALU_DEP_3) | instskip(NEXT) | instid1(VALU_DEP_1)
	v_fma_f64 v[8:9], v[8:9], s[18:19], v[2:3]
	v_add_f64_e32 v[24:25], v[24:25], v[8:9]
	s_wait_loadcnt 0x0
	v_add_f64_e32 v[116:117], v[204:205], v[12:13]
	v_add_f64_e64 v[118:119], v[204:205], -v[12:13]
	s_delay_alu instid0(VALU_DEP_2) | instskip(SKIP_1) | instid1(VALU_DEP_3)
	v_add_f64_e32 v[116:117], v[116:117], v[122:123]
	v_add_f64_e64 v[122:123], v[12:13], -v[122:123]
	v_mul_f64_e32 v[26:27], s[20:21], v[118:119]
	s_delay_alu instid0(VALU_DEP_2) | instskip(NEXT) | instid1(VALU_DEP_1)
	v_mul_f64_e32 v[118:119], s[2:3], v[122:123]
	v_fma_f64 v[118:119], v[120:121], s[10:11], -v[118:119]
	s_delay_alu instid0(VALU_DEP_3)
	v_fma_f64 v[120:121], v[120:121], s[4:5], v[26:27]
	v_fma_f64 v[26:27], v[122:123], s[2:3], -v[26:27]
	v_add_f64_e32 v[122:123], v[126:127], v[8:9]
	v_add_f64_e32 v[8:9], v[18:19], v[8:9]
	v_fma_f64 v[118:119], v[116:117], s[0:1], v[118:119]
	v_fma_f64 v[18:19], v[116:117], s[0:1], v[120:121]
	;; [unrolled: 1-line block ×3, first 2 shown]
	s_delay_alu instid0(VALU_DEP_3) | instskip(NEXT) | instid1(VALU_DEP_3)
	v_add_f64_e64 v[120:121], v[8:9], -v[118:119]
	v_add_f64_e64 v[116:117], v[24:25], -v[18:19]
	s_delay_alu instid0(VALU_DEP_3)
	v_add_f64_e32 v[126:127], v[26:27], v[122:123]
	ds_store_2addr_b64 v124, v[2:3], v[116:117] offset1:1
	ds_store_2addr_b64 v124, v[120:121], v[126:127] offset0:2 offset1:3
	v_add_f64_e64 v[2:3], v[122:123], -v[26:27]
	v_add_f64_e32 v[8:9], v[118:119], v[8:9]
	v_add_f64_e32 v[18:19], v[18:19], v[24:25]
	v_add_f64_e64 v[24:25], v[178:179], -v[162:163]
	v_add_f64_e64 v[26:27], v[162:163], -v[160:161]
	;; [unrolled: 1-line block ×4, first 2 shown]
	v_add_f64_e32 v[116:117], v[158:159], v[16:17]
	v_add_f64_e64 v[120:121], v[150:151], -v[158:159]
	ds_store_2addr_b64 v124, v[2:3], v[8:9] offset0:4 offset1:5
	v_add_f64_e32 v[2:3], v[160:161], v[178:179]
	v_add_f64_e64 v[8:9], v[160:161], -v[178:179]
	ds_store_b64 v124, v[18:19] offset:48
	ds_store_b64 v124, v[0:1] offset:2792
	;; [unrolled: 1-line block ×5, first 2 shown]
	v_mul_f64_e32 v[0:1], s[16:17], v[24:25]
	v_mul_f64_e32 v[10:11], s[22:23], v[26:27]
	;; [unrolled: 1-line block ×3, first 2 shown]
	v_add_f64_e32 v[116:117], v[116:117], v[150:151]
	v_add_f64_e32 v[2:3], v[162:163], v[2:3]
	v_fma_f64 v[18:19], v[26:27], s[22:23], v[0:1]
	v_fma_f64 v[0:1], v[8:9], s[14:15], -v[0:1]
	v_fma_f64 v[8:9], v[8:9], s[12:13], -v[10:11]
	v_mul_f64_e32 v[10:11], s[20:21], v[118:119]
	v_fma_f64 v[20:21], v[120:121], s[10:11], -v[20:21]
	v_add_f64_e32 v[12:13], v[174:175], v[2:3]
	s_delay_alu instid0(VALU_DEP_3) | instskip(SKIP_1) | instid1(VALU_DEP_3)
	v_fma_f64 v[22:23], v[120:121], s[4:5], v[10:11]
	v_fma_f64 v[10:11], v[122:123], s[2:3], -v[10:11]
	v_fma_f64 v[2:3], v[2:3], s[18:19], v[12:13]
	ds_store_b64 v124, v[12:13] offset:13720
	v_fma_f64 v[10:11], v[116:117], s[0:1], v[10:11]
	v_add_f64_e32 v[18:19], v[18:19], v[2:3]
	v_add_f64_e32 v[0:1], v[0:1], v[2:3]
	;; [unrolled: 1-line block ×3, first 2 shown]
	v_fma_f64 v[8:9], v[116:117], s[0:1], v[20:21]
	v_fma_f64 v[20:21], v[116:117], s[0:1], v[22:23]
	v_add_f64_e32 v[22:23], v[170:171], v[152:153]
	s_delay_alu instid0(VALU_DEP_4)
	v_add_f64_e32 v[12:13], v[10:11], v[2:3]
	v_add_f64_e64 v[2:3], v[2:3], -v[10:11]
	v_add_f64_e64 v[10:11], v[0:1], -v[8:9]
	;; [unrolled: 1-line block ×3, first 2 shown]
	v_add_f64_e32 v[22:23], v[134:135], v[22:23]
	ds_store_2addr_b64 v195, v[24:25], v[10:11] offset1:1
	ds_store_2addr_b64 v196, v[12:13], v[2:3] offset1:1
	v_add_f64_e32 v[0:1], v[8:9], v[0:1]
	v_add_f64_e32 v[2:3], v[20:21], v[18:19]
	;; [unrolled: 1-line block ×3, first 2 shown]
	v_add_f64_e64 v[8:9], v[134:135], -v[170:171]
	v_add_f64_e64 v[12:13], v[172:173], -v[168:169]
	;; [unrolled: 1-line block ×3, first 2 shown]
	v_add_f64_e32 v[10:11], v[172:173], v[168:169]
	v_add_f64_e64 v[18:19], v[164:165], -v[172:173]
	ds_store_2addr_b64 v166, v[0:1], v[2:3] offset1:1
	ds_store_b64 v124, v[16:17] offset:16464
	v_add_f64_e64 v[2:3], v[152:153], -v[134:135]
	v_add_f64_e64 v[0:1], v[170:171], -v[152:153]
	v_fma_f64 v[16:17], v[22:23], s[18:19], v[16:17]
	v_mul_f64_e32 v[22:23], s[22:23], v[8:9]
	v_mul_f64_e32 v[12:13], s[20:21], v[12:13]
	v_add_f64_e32 v[10:11], v[10:11], v[164:165]
	v_mul_f64_e32 v[2:3], s[16:17], v[2:3]
	s_delay_alu instid0(VALU_DEP_1)
	v_fma_f64 v[8:9], v[8:9], s[22:23], v[2:3]
	v_fma_f64 v[2:3], v[0:1], s[14:15], -v[2:3]
	v_fma_f64 v[0:1], v[0:1], s[12:13], -v[22:23]
	v_mul_f64_e32 v[22:23], s[2:3], v[20:21]
	v_fma_f64 v[20:21], v[20:21], s[2:3], -v[12:13]
	v_fma_f64 v[12:13], v[18:19], s[4:5], v[12:13]
	v_add_f64_e32 v[8:9], v[8:9], v[16:17]
	v_add_f64_e32 v[2:3], v[2:3], v[16:17]
	v_add_f64_e32 v[0:1], v[0:1], v[16:17]
	v_fma_f64 v[22:23], v[18:19], s[10:11], -v[22:23]
	v_fma_f64 v[16:17], v[10:11], s[0:1], v[20:21]
	s_delay_alu instid0(VALU_DEP_2) | instskip(SKIP_1) | instid1(VALU_DEP_3)
	v_fma_f64 v[18:19], v[10:11], s[0:1], v[22:23]
	v_fma_f64 v[10:11], v[10:11], s[0:1], v[12:13]
	v_add_f64_e32 v[12:13], v[16:17], v[0:1]
	v_add_f64_e64 v[0:1], v[0:1], -v[16:17]
	s_delay_alu instid0(VALU_DEP_4) | instskip(NEXT) | instid1(VALU_DEP_4)
	v_add_f64_e64 v[16:17], v[2:3], -v[18:19]
	v_add_f64_e64 v[20:21], v[8:9], -v[10:11]
	ds_store_2addr_b64 v210, v[20:21], v[16:17] offset1:1
	ds_store_2addr_b64 v211, v[12:13], v[0:1] offset1:1
	v_add_f64_e32 v[0:1], v[18:19], v[2:3]
	v_add_f64_e32 v[2:3], v[10:11], v[8:9]
	ds_store_2addr_b64 v212, v[0:1], v[2:3] offset1:1
	v_and_b32_e32 v0, 0xff, v38
	global_wb scope:SCOPE_SE
	s_wait_dscnt 0x0
	s_barrier_signal -1
	s_barrier_wait -1
	global_inv scope:SCOPE_SE
	v_mul_lo_u16 v0, v0, 37
	ds_load_2addr_b64 v[8:11], v219 offset0:174 offset1:223
	v_lshrrev_b16 v0, 8, v0
	s_delay_alu instid0(VALU_DEP_1) | instskip(NEXT) | instid1(VALU_DEP_1)
	v_sub_nc_u16 v1, v38, v0
	v_lshrrev_b16 v1, 1, v1
	s_delay_alu instid0(VALU_DEP_1) | instskip(NEXT) | instid1(VALU_DEP_1)
	v_and_b32_e32 v1, 0x7f, v1
	v_add_nc_u16 v0, v1, v0
	s_delay_alu instid0(VALU_DEP_1) | instskip(NEXT) | instid1(VALU_DEP_1)
	v_lshrrev_b16 v248, 2, v0
	v_mul_lo_u16 v0, v248, 7
	s_delay_alu instid0(VALU_DEP_1) | instskip(NEXT) | instid1(VALU_DEP_1)
	v_sub_nc_u16 v0, v38, v0
	v_and_b32_e32 v195, 0xff, v0
	s_delay_alu instid0(VALU_DEP_1) | instskip(NEXT) | instid1(VALU_DEP_1)
	v_mul_u32_u24_e32 v0, 6, v195
	v_lshlrev_b32_e32 v16, 4, v0
	s_clause 0x1
	global_load_b128 v[0:3], v16, s[8:9] offset:16
	global_load_b128 v[140:143], v16, s[8:9]
	s_wait_loadcnt_dscnt 0x100
	v_mul_f64_e32 v[12:13], v[8:9], v[2:3]
	v_mul_f64_e32 v[2:3], v[112:113], v[2:3]
	s_delay_alu instid0(VALU_DEP_2) | instskip(NEXT) | instid1(VALU_DEP_2)
	v_fma_f64 v[204:205], v[112:113], v[0:1], -v[12:13]
	v_fma_f64 v[176:177], v[8:9], v[0:1], v[2:3]
	v_add_nc_u16 v0, v38, 49
	s_delay_alu instid0(VALU_DEP_1) | instskip(NEXT) | instid1(VALU_DEP_1)
	v_and_b32_e32 v1, 0xff, v0
	v_mul_lo_u16 v1, v1, 37
	s_delay_alu instid0(VALU_DEP_1) | instskip(NEXT) | instid1(VALU_DEP_1)
	v_lshrrev_b16 v1, 8, v1
	v_sub_nc_u16 v2, v0, v1
	s_delay_alu instid0(VALU_DEP_1) | instskip(NEXT) | instid1(VALU_DEP_1)
	v_lshrrev_b16 v2, 1, v2
	v_and_b32_e32 v2, 0x7f, v2
	s_delay_alu instid0(VALU_DEP_1) | instskip(NEXT) | instid1(VALU_DEP_1)
	v_add_nc_u16 v1, v2, v1
	v_lshrrev_b16 v112, 2, v1
	s_delay_alu instid0(VALU_DEP_1) | instskip(NEXT) | instid1(VALU_DEP_1)
	v_mul_lo_u16 v1, v112, 7
	v_sub_nc_u16 v0, v0, v1
	s_delay_alu instid0(VALU_DEP_1) | instskip(NEXT) | instid1(VALU_DEP_1)
	v_and_b32_e32 v113, 0xff, v0
	v_mul_u32_u24_e32 v0, 6, v113
	s_delay_alu instid0(VALU_DEP_1)
	v_lshlrev_b32_e32 v124, 4, v0
	s_clause 0x2
	global_load_b128 v[17:20], v124, s[8:9] offset:16
	global_load_b128 v[116:119], v124, s[8:9]
	global_load_b128 v[228:231], v16, s[8:9] offset:32
	s_wait_loadcnt 0x2
	v_mul_f64_e32 v[0:1], v[10:11], v[19:20]
	s_delay_alu instid0(VALU_DEP_1) | instskip(SKIP_1) | instid1(VALU_DEP_1)
	v_fma_f64 v[206:207], v[114:115], v[17:18], -v[0:1]
	v_mul_f64_e32 v[0:1], v[114:115], v[19:20]
	v_fma_f64 v[211:212], v[10:11], v[17:18], v[0:1]
	global_load_b128 v[8:11], v16, s[8:9] offset:48
	ds_load_2addr_b64 v[17:20], v167 offset0:92 offset1:141
	s_clause 0x1
	global_load_b128 v[120:123], v124, s[8:9] offset:48
	global_load_b128 v[126:129], v124, s[8:9] offset:32
	s_wait_loadcnt_dscnt 0x200
	v_mul_f64_e32 v[0:1], v[17:18], v[10:11]
	s_delay_alu instid0(VALU_DEP_1) | instskip(SKIP_1) | instid1(VALU_DEP_1)
	v_fma_f64 v[150:151], v[108:109], v[8:9], -v[0:1]
	v_mul_f64_e32 v[0:1], v[108:109], v[10:11]
	v_fma_f64 v[12:13], v[17:18], v[8:9], v[0:1]
	s_wait_loadcnt 0x1
	v_mul_f64_e32 v[0:1], v[19:20], v[122:123]
	s_delay_alu instid0(VALU_DEP_1) | instskip(SKIP_2) | instid1(VALU_DEP_2)
	v_fma_f64 v[213:214], v[110:111], v[120:121], -v[0:1]
	v_mul_f64_e32 v[0:1], v[110:111], v[122:123]
	v_mov_b32_e32 v123, v194
	v_fma_f64 v[215:216], v[19:20], v[120:121], v[0:1]
	s_clause 0x1
	global_load_b128 v[17:20], v16, s[8:9] offset:80
	global_load_b128 v[0:3], v16, s[8:9] offset:64
	ds_load_2addr_b64 v[24:27], v136 offset0:10 offset1:59
	s_wait_loadcnt_dscnt 0x100
	v_mul_f64_e32 v[10:11], v[24:25], v[19:20]
	v_mul_f64_e32 v[19:20], v[104:105], v[19:20]
	s_delay_alu instid0(VALU_DEP_2) | instskip(NEXT) | instid1(VALU_DEP_2)
	v_fma_f64 v[148:149], v[104:105], v[17:18], -v[10:11]
	v_fma_f64 v[16:17], v[24:25], v[17:18], v[19:20]
	s_clause 0x1
	global_load_b128 v[18:21], v124, s[8:9] offset:80
	global_load_b128 v[108:111], v124, s[8:9] offset:64
	v_add_nc_u16 v124, v38, 0xc4
	v_mov_b32_e32 v105, v30
	s_wait_loadcnt 0x1
	v_mul_f64_e32 v[24:25], v[26:27], v[20:21]
	v_mul_f64_e32 v[20:21], v[106:107], v[20:21]
	s_delay_alu instid0(VALU_DEP_2) | instskip(NEXT) | instid1(VALU_DEP_2)
	v_fma_f64 v[226:227], v[106:107], v[18:19], -v[24:25]
	v_fma_f64 v[220:221], v[26:27], v[18:19], v[20:21]
	ds_load_2addr_b64 v[18:21], v30 offset0:136 offset1:185
	s_wait_dscnt 0x0
	v_mul_f64_e32 v[24:25], v[18:19], v[118:119]
	s_delay_alu instid0(VALU_DEP_1) | instskip(SKIP_1) | instid1(VALU_DEP_1)
	v_fma_f64 v[224:225], v[100:101], v[116:117], -v[24:25]
	v_mul_f64_e32 v[24:25], v[100:101], v[118:119]
	v_fma_f64 v[166:167], v[18:19], v[116:117], v[24:25]
	v_and_b32_e32 v18, 0xff, v188
	s_delay_alu instid0(VALU_DEP_1) | instskip(NEXT) | instid1(VALU_DEP_1)
	v_mul_lo_u16 v18, v18, 37
	v_lshrrev_b16 v18, 8, v18
	s_delay_alu instid0(VALU_DEP_1) | instskip(NEXT) | instid1(VALU_DEP_1)
	v_sub_nc_u16 v19, v188, v18
	v_lshrrev_b16 v19, 1, v19
	s_delay_alu instid0(VALU_DEP_1) | instskip(NEXT) | instid1(VALU_DEP_1)
	v_and_b32_e32 v19, 0x7f, v19
	v_add_nc_u16 v18, v19, v18
	s_delay_alu instid0(VALU_DEP_1) | instskip(NEXT) | instid1(VALU_DEP_1)
	v_lshrrev_b16 v106, 2, v18
	v_mul_lo_u16 v18, v106, 7
	s_delay_alu instid0(VALU_DEP_1) | instskip(NEXT) | instid1(VALU_DEP_1)
	v_sub_nc_u16 v18, v188, v18
	v_and_b32_e32 v107, 0xff, v18
	s_delay_alu instid0(VALU_DEP_1) | instskip(NEXT) | instid1(VALU_DEP_1)
	v_mul_u32_u24_e32 v18, 6, v107
	v_lshlrev_b32_e32 v104, 4, v18
	s_clause 0x1
	global_load_b128 v[24:27], v104, s[8:9]
	global_load_b128 v[114:117], v104, s[8:9] offset:16
	s_wait_loadcnt 0x1
	v_mul_f64_e32 v[18:19], v[20:21], v[26:27]
	s_delay_alu instid0(VALU_DEP_1) | instskip(SKIP_1) | instid1(VALU_DEP_1)
	v_fma_f64 v[162:163], v[102:103], v[24:25], -v[18:19]
	v_mul_f64_e32 v[18:19], v[102:103], v[26:27]
	v_fma_f64 v[164:165], v[20:21], v[24:25], v[18:19]
	ds_load_2addr_b64 v[18:21], v138 offset0:54 offset1:103
	s_wait_dscnt 0x0
	v_mul_f64_e32 v[24:25], v[18:19], v[128:129]
	s_delay_alu instid0(VALU_DEP_1) | instskip(SKIP_2) | instid1(VALU_DEP_2)
	v_fma_f64 v[184:185], v[96:97], v[126:127], -v[24:25]
	v_mul_f64_e32 v[24:25], v[96:97], v[128:129]
	v_add_nc_u32_e32 v129, 0x126, v38
	v_fma_f64 v[186:187], v[18:19], v[126:127], v[24:25]
	s_clause 0x1
	global_load_b128 v[24:27], v104, s[8:9] offset:32
	global_load_b128 v[100:103], v104, s[8:9] offset:48
	s_wait_loadcnt 0x1
	v_mul_f64_e32 v[18:19], v[20:21], v[26:27]
	s_delay_alu instid0(VALU_DEP_1) | instskip(SKIP_1) | instid1(VALU_DEP_1)
	v_fma_f64 v[170:171], v[98:99], v[24:25], -v[18:19]
	v_mul_f64_e32 v[18:19], v[98:99], v[26:27]
	v_fma_f64 v[120:121], v[20:21], v[24:25], v[18:19]
	ds_load_2addr_b64 v[18:21], v28 offset0:100 offset1:149
	s_wait_dscnt 0x0
	v_mul_f64_e32 v[24:25], v[18:19], v[110:111]
	s_delay_alu instid0(VALU_DEP_1) | instskip(SKIP_1) | instid1(VALU_DEP_1)
	v_fma_f64 v[22:23], v[92:93], v[108:109], -v[24:25]
	v_mul_f64_e32 v[24:25], v[92:93], v[110:111]
	v_fma_f64 v[232:233], v[18:19], v[108:109], v[24:25]
	s_clause 0x1
	global_load_b128 v[24:27], v104, s[8:9] offset:64
	global_load_b128 v[96:99], v104, s[8:9] offset:80
	s_wait_loadcnt 0x1
	v_mul_f64_e32 v[18:19], v[20:21], v[26:27]
	s_delay_alu instid0(VALU_DEP_1) | instskip(SKIP_1) | instid1(VALU_DEP_1)
	v_fma_f64 v[174:175], v[94:95], v[24:25], -v[18:19]
	v_mul_f64_e32 v[18:19], v[94:95], v[26:27]
	v_fma_f64 v[132:133], v[20:21], v[24:25], v[18:19]
	ds_load_2addr_b64 v[18:21], v139 offset0:16 offset1:65
	s_wait_dscnt 0x0
	v_mul_f64_e32 v[24:25], v[18:19], v[116:117]
	s_delay_alu instid0(VALU_DEP_1) | instskip(SKIP_1) | instid1(VALU_DEP_1)
	v_fma_f64 v[252:253], v[88:89], v[114:115], -v[24:25]
	v_mul_f64_e32 v[24:25], v[88:89], v[116:117]
	v_fma_f64 v[160:161], v[18:19], v[114:115], v[24:25]
	v_and_b32_e32 v18, 0xff, v39
	s_delay_alu instid0(VALU_DEP_1) | instskip(NEXT) | instid1(VALU_DEP_1)
	v_mul_lo_u16 v18, v18, 37
	v_lshrrev_b16 v18, 8, v18
	s_delay_alu instid0(VALU_DEP_1) | instskip(NEXT) | instid1(VALU_DEP_1)
	v_sub_nc_u16 v19, v39, v18
	v_lshrrev_b16 v19, 1, v19
	s_delay_alu instid0(VALU_DEP_1) | instskip(NEXT) | instid1(VALU_DEP_1)
	v_and_b32_e32 v19, 0x7f, v19
	v_add_nc_u16 v18, v19, v18
	s_delay_alu instid0(VALU_DEP_1) | instskip(NEXT) | instid1(VALU_DEP_1)
	v_lshrrev_b16 v88, 2, v18
	v_mul_lo_u16 v18, v88, 7
	s_delay_alu instid0(VALU_DEP_1) | instskip(NEXT) | instid1(VALU_DEP_1)
	v_sub_nc_u16 v18, v39, v18
	v_and_b32_e32 v89, 0xff, v18
	s_delay_alu instid0(VALU_DEP_1) | instskip(NEXT) | instid1(VALU_DEP_1)
	v_mul_u32_u24_e32 v18, 6, v89
	v_lshlrev_b32_e32 v104, 4, v18
	s_clause 0x1
	global_load_b128 v[24:27], v104, s[8:9] offset:16
	global_load_b128 v[92:95], v104, s[8:9]
	s_wait_loadcnt 0x1
	v_mul_f64_e32 v[18:19], v[20:21], v[26:27]
	s_delay_alu instid0(VALU_DEP_1) | instskip(SKIP_1) | instid1(VALU_DEP_1)
	v_fma_f64 v[254:255], v[90:91], v[24:25], -v[18:19]
	v_mul_f64_e32 v[18:19], v[90:91], v[26:27]
	v_fma_f64 v[4:5], v[20:21], v[24:25], v[18:19]
	ds_load_2addr_b64 v[18:21], v208 offset0:190 offset1:239
	s_wait_dscnt 0x0
	v_mul_f64_e32 v[24:25], v[18:19], v[102:103]
	s_delay_alu instid0(VALU_DEP_1) | instskip(SKIP_1) | instid1(VALU_DEP_1)
	v_fma_f64 v[234:235], v[84:85], v[100:101], -v[24:25]
	v_mul_f64_e32 v[24:25], v[84:85], v[102:103]
	v_fma_f64 v[242:243], v[18:19], v[100:101], v[24:25]
	s_clause 0x1
	scratch_store_b64 off, v[4:5], off offset:132
	scratch_store_b64 off, v[242:243], off offset:212
	s_clause 0x1
	global_load_b128 v[24:27], v104, s[8:9] offset:48
	global_load_b128 v[100:103], v104, s[8:9] offset:32
	s_wait_loadcnt 0x1
	v_mul_f64_e32 v[18:19], v[20:21], v[26:27]
	s_delay_alu instid0(VALU_DEP_1) | instskip(SKIP_1) | instid1(VALU_DEP_1)
	v_fma_f64 v[4:5], v[86:87], v[24:25], -v[18:19]
	v_mul_f64_e32 v[18:19], v[86:87], v[26:27]
	v_fma_f64 v[172:173], v[20:21], v[24:25], v[18:19]
	ds_load_2addr_b64 v[18:21], v136 offset0:108 offset1:157
	s_wait_dscnt 0x0
	v_mul_f64_e32 v[24:25], v[18:19], v[98:99]
	s_delay_alu instid0(VALU_DEP_1)
	v_fma_f64 v[152:153], v[80:81], v[96:97], -v[24:25]
	v_mul_f64_e32 v[24:25], v[80:81], v[98:99]
	scratch_store_b64 off, v[4:5], off      ; 8-byte Folded Spill
	v_fma_f64 v[249:250], v[18:19], v[96:97], v[24:25]
	s_clause 0x1
	scratch_store_b64 off, v[152:153], off offset:196
	scratch_store_b64 off, v[249:250], off offset:356
	s_clause 0x1
	global_load_b128 v[24:27], v104, s[8:9] offset:80
	global_load_b128 v[84:87], v104, s[8:9] offset:64
	s_wait_loadcnt 0x1
	v_mul_f64_e32 v[18:19], v[20:21], v[26:27]
	s_delay_alu instid0(VALU_DEP_1) | instskip(SKIP_1) | instid1(VALU_DEP_1)
	v_fma_f64 v[134:135], v[82:83], v[24:25], -v[18:19]
	v_mul_f64_e32 v[18:19], v[82:83], v[26:27]
	v_fma_f64 v[182:183], v[20:21], v[24:25], v[18:19]
	ds_load_2addr_b64 v[18:21], v36 offset0:106 offset1:155
	s_wait_dscnt 0x0
	v_mul_f64_e32 v[24:25], v[18:19], v[94:95]
	s_delay_alu instid0(VALU_DEP_1) | instskip(SKIP_1) | instid1(VALU_DEP_1)
	v_fma_f64 v[108:109], v[76:77], v[92:93], -v[24:25]
	v_mul_f64_e32 v[24:25], v[76:77], v[94:95]
	v_fma_f64 v[196:197], v[18:19], v[92:93], v[24:25]
	v_and_b32_e32 v18, 0xff, v124
	s_delay_alu instid0(VALU_DEP_1) | instskip(NEXT) | instid1(VALU_DEP_1)
	v_mul_lo_u16 v18, v18, 37
	v_lshrrev_b16 v18, 8, v18
	s_delay_alu instid0(VALU_DEP_1) | instskip(NEXT) | instid1(VALU_DEP_1)
	v_sub_nc_u16 v19, v124, v18
	v_lshrrev_b16 v19, 1, v19
	s_delay_alu instid0(VALU_DEP_1) | instskip(NEXT) | instid1(VALU_DEP_1)
	v_and_b32_e32 v19, 0x7f, v19
	v_add_nc_u16 v18, v19, v18
	s_delay_alu instid0(VALU_DEP_1) | instskip(NEXT) | instid1(VALU_DEP_1)
	v_lshrrev_b16 v76, 2, v18
	v_mul_lo_u16 v18, v76, 7
	s_delay_alu instid0(VALU_DEP_1) | instskip(NEXT) | instid1(VALU_DEP_1)
	v_sub_nc_u16 v18, v124, v18
	v_and_b32_e32 v77, 0xff, v18
	s_delay_alu instid0(VALU_DEP_1) | instskip(NEXT) | instid1(VALU_DEP_1)
	v_mul_u32_u24_e32 v18, 6, v77
	v_lshlrev_b32_e32 v94, 4, v18
	s_clause 0x1
	global_load_b128 v[24:27], v94, s[8:9]
	global_load_b128 v[80:83], v94, s[8:9] offset:16
	s_wait_loadcnt 0x1
	v_mul_f64_e32 v[18:19], v[20:21], v[26:27]
	s_delay_alu instid0(VALU_DEP_1)
	v_fma_f64 v[4:5], v[78:79], v[24:25], -v[18:19]
	v_mul_f64_e32 v[18:19], v[78:79], v[26:27]
	scratch_store_b64 off, v[4:5], off offset:140 ; 8-byte Folded Spill
	v_fma_f64 v[4:5], v[20:21], v[24:25], v[18:19]
	ds_load_2addr_b64 v[18:21], v138 offset0:152 offset1:201
	s_wait_dscnt 0x0
	v_mul_f64_e32 v[24:25], v[18:19], v[102:103]
	s_delay_alu instid0(VALU_DEP_1)
	v_fma_f64 v[130:131], v[72:73], v[100:101], -v[24:25]
	v_mul_f64_e32 v[24:25], v[72:73], v[102:103]
	scratch_store_b64 off, v[4:5], off offset:124 ; 8-byte Folded Spill
	v_fma_f64 v[110:111], v[18:19], v[100:101], v[24:25]
	s_clause 0x1
	scratch_store_b64 off, v[130:131], off offset:172
	scratch_store_b64 off, v[110:111], off offset:372
	s_clause 0x1
	global_load_b128 v[24:27], v94, s[8:9] offset:32
	global_load_b128 v[90:93], v94, s[8:9] offset:48
	s_wait_loadcnt 0x1
	v_mul_f64_e32 v[18:19], v[20:21], v[26:27]
	s_delay_alu instid0(VALU_DEP_1) | instskip(SKIP_1) | instid1(VALU_DEP_1)
	v_fma_f64 v[178:179], v[74:75], v[24:25], -v[18:19]
	v_mul_f64_e32 v[18:19], v[74:75], v[26:27]
	v_fma_f64 v[244:245], v[20:21], v[24:25], v[18:19]
	ds_load_2addr_b64 v[18:21], v194 offset0:70 offset1:119
	s_wait_dscnt 0x0
	v_mul_f64_e32 v[24:25], v[18:19], v[86:87]
	s_delay_alu instid0(VALU_DEP_1)
	v_fma_f64 v[30:31], v[68:69], v[84:85], -v[24:25]
	v_mul_f64_e32 v[24:25], v[68:69], v[86:87]
	scratch_store_b64 off, v[30:31], off offset:180 ; 8-byte Folded Spill
	v_fma_f64 v[84:85], v[18:19], v[84:85], v[24:25]
	s_clause 0x1
	global_load_b128 v[24:27], v94, s[8:9] offset:64
	global_load_b128 v[72:75], v94, s[8:9] offset:80
	s_wait_loadcnt 0x1
	v_mul_f64_e32 v[18:19], v[20:21], v[26:27]
	s_delay_alu instid0(VALU_DEP_1) | instskip(SKIP_1) | instid1(VALU_DEP_1)
	v_fma_f64 v[180:181], v[70:71], v[24:25], -v[18:19]
	v_mul_f64_e32 v[18:19], v[70:71], v[26:27]
	v_fma_f64 v[192:193], v[20:21], v[24:25], v[18:19]
	ds_load_2addr_b64 v[18:21], v139 offset0:114 offset1:163
	v_mov_b32_e32 v139, v37
	s_wait_dscnt 0x0
	v_mul_f64_e32 v[24:25], v[18:19], v[82:83]
	s_delay_alu instid0(VALU_DEP_1) | instskip(SKIP_1) | instid1(VALU_DEP_1)
	v_fma_f64 v[118:119], v[64:65], v[80:81], -v[24:25]
	v_mul_f64_e32 v[24:25], v[64:65], v[82:83]
	v_fma_f64 v[209:210], v[18:19], v[80:81], v[24:25]
	v_add_nc_u32_e32 v24, 0xf5, v38
	s_delay_alu instid0(VALU_DEP_1) | instskip(SKIP_2) | instid1(VALU_DEP_1)
	v_and_b32_e32 v18, 0xffff, v24
	scratch_store_b32 off, v24, off offset:68 ; 4-byte Folded Spill
	v_mul_u32_u24_e32 v18, 0x2493, v18
	v_lshrrev_b32_e32 v18, 16, v18
	s_delay_alu instid0(VALU_DEP_1) | instskip(NEXT) | instid1(VALU_DEP_1)
	v_sub_nc_u16 v19, v24, v18
	v_lshrrev_b16 v19, 1, v19
	s_delay_alu instid0(VALU_DEP_1) | instskip(NEXT) | instid1(VALU_DEP_1)
	v_add_nc_u16 v18, v19, v18
	v_lshrrev_b16 v64, 2, v18
	s_delay_alu instid0(VALU_DEP_1) | instskip(NEXT) | instid1(VALU_DEP_1)
	v_mul_lo_u16 v18, v64, 7
	v_sub_nc_u16 v18, v24, v18
	s_delay_alu instid0(VALU_DEP_1) | instskip(NEXT) | instid1(VALU_DEP_1)
	v_and_b32_e32 v65, 0xffff, v18
	v_mul_u32_u24_e32 v18, 6, v65
	s_delay_alu instid0(VALU_DEP_1)
	v_lshlrev_b32_e32 v82, 4, v18
	s_clause 0x1
	global_load_b128 v[24:27], v82, s[8:9] offset:16
	global_load_b128 v[68:71], v82, s[8:9]
	s_wait_loadcnt 0x1
	v_mul_f64_e32 v[18:19], v[20:21], v[26:27]
	s_delay_alu instid0(VALU_DEP_1)
	v_fma_f64 v[4:5], v[66:67], v[24:25], -v[18:19]
	v_mul_f64_e32 v[18:19], v[66:67], v[26:27]
	scratch_store_b64 off, v[4:5], off offset:164 ; 8-byte Folded Spill
	v_fma_f64 v[4:5], v[20:21], v[24:25], v[18:19]
	ds_load_2addr_b64 v[18:21], v189 offset0:32 offset1:81
	s_wait_dscnt 0x0
	v_mul_f64_e32 v[24:25], v[18:19], v[92:93]
	s_delay_alu instid0(VALU_DEP_1)
	v_fma_f64 v[114:115], v[60:61], v[90:91], -v[24:25]
	v_mul_f64_e32 v[24:25], v[60:61], v[92:93]
	scratch_store_b64 off, v[4:5], off offset:116 ; 8-byte Folded Spill
	v_fma_f64 v[240:241], v[18:19], v[90:91], v[24:25]
	s_clause 0x1
	scratch_store_b64 off, v[114:115], off offset:244
	scratch_store_b64 off, v[240:241], off offset:388
	s_clause 0x1
	global_load_b128 v[24:27], v82, s[8:9] offset:48
	global_load_b128 v[78:81], v82, s[8:9] offset:32
	s_wait_loadcnt 0x1
	v_mul_f64_e32 v[18:19], v[20:21], v[26:27]
	s_delay_alu instid0(VALU_DEP_1) | instskip(SKIP_1) | instid1(VALU_DEP_1)
	v_fma_f64 v[90:91], v[62:63], v[24:25], -v[18:19]
	v_mul_f64_e32 v[18:19], v[62:63], v[26:27]
	v_fma_f64 v[4:5], v[20:21], v[24:25], v[18:19]
	ds_load_2addr_b64 v[18:21], v136 offset0:206 offset1:255
	s_wait_dscnt 0x0
	v_mul_f64_e32 v[24:25], v[18:19], v[74:75]
	s_delay_alu instid0(VALU_DEP_1)
	v_fma_f64 v[158:159], v[56:57], v[72:73], -v[24:25]
	v_mul_f64_e32 v[24:25], v[56:57], v[74:75]
	s_clause 0x1
	scratch_store_b64 off, v[4:5], off offset:156
	scratch_store_b64 off, v[158:159], off offset:260
	v_fma_f64 v[72:73], v[18:19], v[72:73], v[24:25]
	s_clause 0x1
	global_load_b128 v[24:27], v82, s[8:9] offset:80
	global_load_b128 v[60:63], v82, s[8:9] offset:64
	s_wait_loadcnt 0x1
	v_mul_f64_e32 v[18:19], v[20:21], v[26:27]
	s_delay_alu instid0(VALU_DEP_1) | instskip(SKIP_1) | instid1(VALU_DEP_1)
	v_fma_f64 v[190:191], v[58:59], v[24:25], -v[18:19]
	v_mul_f64_e32 v[18:19], v[58:59], v[26:27]
	v_fma_f64 v[198:199], v[20:21], v[24:25], v[18:19]
	ds_load_2addr_b64 v[18:21], v219 offset0:76 offset1:125
	s_wait_dscnt 0x0
	v_mul_f64_e32 v[24:25], v[18:19], v[70:71]
	s_delay_alu instid0(VALU_DEP_1) | instskip(SKIP_1) | instid1(VALU_DEP_1)
	v_fma_f64 v[126:127], v[52:53], v[68:69], -v[24:25]
	v_mul_f64_e32 v[24:25], v[52:53], v[70:71]
	v_fma_f64 v[68:69], v[18:19], v[68:69], v[24:25]
	v_and_b32_e32 v18, 0xffff, v129
	s_delay_alu instid0(VALU_DEP_1) | instskip(NEXT) | instid1(VALU_DEP_1)
	v_mul_u32_u24_e32 v18, 0x2493, v18
	v_lshrrev_b32_e32 v18, 16, v18
	s_delay_alu instid0(VALU_DEP_1) | instskip(NEXT) | instid1(VALU_DEP_1)
	v_sub_nc_u16 v19, v129, v18
	v_lshrrev_b16 v19, 1, v19
	s_delay_alu instid0(VALU_DEP_1) | instskip(NEXT) | instid1(VALU_DEP_1)
	v_add_nc_u16 v18, v19, v18
	v_lshrrev_b16 v117, 2, v18
	s_delay_alu instid0(VALU_DEP_1) | instskip(NEXT) | instid1(VALU_DEP_1)
	v_mul_lo_u16 v18, v117, 7
	v_sub_nc_u16 v18, v129, v18
	s_delay_alu instid0(VALU_DEP_1) | instskip(NEXT) | instid1(VALU_DEP_1)
	v_and_b32_e32 v10, 0xffff, v18
	v_mul_u32_u24_e32 v18, 6, v10
	s_delay_alu instid0(VALU_DEP_1)
	v_lshlrev_b32_e32 v66, 4, v18
	s_clause 0x1
	global_load_b128 v[24:27], v66, s[8:9]
	global_load_b128 v[56:59], v66, s[8:9] offset:16
	s_wait_loadcnt 0x1
	v_mul_f64_e32 v[18:19], v[20:21], v[26:27]
	s_delay_alu instid0(VALU_DEP_1)
	v_fma_f64 v[4:5], v[54:55], v[24:25], -v[18:19]
	v_mul_f64_e32 v[18:19], v[54:55], v[26:27]
	scratch_store_b64 off, v[4:5], off offset:148 ; 8-byte Folded Spill
	v_fma_f64 v[4:5], v[20:21], v[24:25], v[18:19]
	v_mul_f64_e32 v[20:21], v[46:47], v[230:231]
	ds_load_2addr_b64 v[24:27], v29 offset0:84 offset1:133
	s_wait_dscnt 0x0
	v_mul_f64_e32 v[18:19], v[26:27], v[230:231]
	v_dual_mov_b32 v231, v119 :: v_dual_mov_b32 v230, v118
	v_fma_f64 v[20:21], v[26:27], v[228:229], v[20:21]
	s_wait_loadcnt 0x0
	v_mul_f64_e32 v[26:27], v[24:25], v[58:59]
	s_delay_alu instid0(VALU_DEP_4) | instskip(SKIP_2) | instid1(VALU_DEP_4)
	v_fma_f64 v[18:19], v[46:47], v[228:229], -v[18:19]
	v_dual_mov_b32 v229, v109 :: v_dual_mov_b32 v228, v108
	v_dual_mov_b32 v109, v85 :: v_dual_mov_b32 v108, v84
	v_fma_f64 v[74:75], v[44:45], v[56:57], -v[26:27]
	v_mul_f64_e32 v[26:27], v[44:45], v[58:59]
	s_delay_alu instid0(VALU_DEP_1)
	v_fma_f64 v[82:83], v[24:25], v[56:57], v[26:27]
	ds_load_2addr_b64 v[24:27], v37 offset0:122 offset1:171
	s_wait_dscnt 0x0
	v_mul_f64_e32 v[44:45], v[24:25], v[80:81]
	scratch_store_b64 off, v[82:83], off offset:452 ; 8-byte Folded Spill
	v_fma_f64 v[222:223], v[48:49], v[78:79], -v[44:45]
	v_mul_f64_e32 v[44:45], v[48:49], v[80:81]
	s_clause 0x1
	scratch_store_b64 off, v[4:5], off offset:108
	scratch_store_b64 off, v[222:223], off offset:228
	v_fma_f64 v[8:9], v[24:25], v[78:79], v[44:45]
	s_clause 0x1
	scratch_store_b64 off, v[74:75], off offset:324
	scratch_store_b64 off, v[8:9], off offset:396
	s_clause 0x1
	global_load_b128 v[44:47], v66, s[8:9] offset:32
	global_load_b128 v[54:57], v66, s[8:9] offset:48
	s_wait_loadcnt 0x1
	v_mul_f64_e32 v[24:25], v[26:27], v[46:47]
	s_delay_alu instid0(VALU_DEP_1) | instskip(SKIP_1) | instid1(VALU_DEP_1)
	v_fma_f64 v[78:79], v[50:51], v[44:45], -v[24:25]
	v_mul_f64_e32 v[24:25], v[50:51], v[46:47]
	v_fma_f64 v[80:81], v[26:27], v[44:45], v[24:25]
	ds_load_2addr_b64 v[44:47], v189 offset0:130 offset1:179
	s_wait_dscnt 0x0
	v_mul_f64_e32 v[24:25], v[46:47], v[2:3]
	v_mul_f64_e32 v[2:3], v[238:239], v[2:3]
	s_delay_alu instid0(VALU_DEP_2) | instskip(NEXT) | instid1(VALU_DEP_2)
	v_fma_f64 v[26:27], v[238:239], v[0:1], -v[24:25]
	v_fma_f64 v[70:71], v[46:47], v[0:1], v[2:3]
	s_wait_loadcnt 0x0
	v_mul_f64_e32 v[0:1], v[44:45], v[56:57]
	s_delay_alu instid0(VALU_DEP_1) | instskip(SKIP_1) | instid1(VALU_DEP_1)
	v_fma_f64 v[52:53], v[236:237], v[54:55], -v[0:1]
	v_mul_f64_e32 v[0:1], v[236:237], v[56:57]
	v_fma_f64 v[6:7], v[44:45], v[54:55], v[0:1]
	ds_load_2addr_b64 v[0:3], v194 offset0:168 offset1:217
	scratch_store_b64 off, v[80:81], off offset:436 ; 8-byte Folded Spill
	s_wait_dscnt 0x0
	v_mul_f64_e32 v[24:25], v[0:1], v[62:63]
	scratch_store_b64 off, v[6:7], off offset:428 ; 8-byte Folded Spill
	v_fma_f64 v[96:97], v[40:41], v[60:61], -v[24:25]
	v_mul_f64_e32 v[24:25], v[40:41], v[62:63]
	s_clause 0x1
	scratch_store_b64 off, v[52:53], off offset:276
	scratch_store_b64 off, v[96:97], off offset:236
	v_fma_f64 v[217:218], v[0:1], v[60:61], v[24:25]
	s_clause 0x1
	scratch_store_b64 off, v[78:79], off offset:292
	scratch_store_b64 off, v[217:218], off offset:412
	s_clause 0x1
	global_load_b128 v[44:47], v66, s[8:9] offset:64
	global_load_b128 v[48:51], v66, s[8:9] offset:80
	ds_load_2addr_b64 v[92:95], v105 offset0:38 offset1:87
	v_mov_b32_e32 v66, v105
	s_wait_loadcnt 0x1
	v_mul_f64_e32 v[0:1], v[2:3], v[46:47]
	s_delay_alu instid0(VALU_DEP_1) | instskip(SKIP_1) | instid1(VALU_DEP_1)
	v_fma_f64 v[246:247], v[42:43], v[44:45], -v[0:1]
	v_mul_f64_e32 v[0:1], v[42:43], v[46:47]
	v_fma_f64 v[236:237], v[2:3], v[44:45], v[0:1]
	ds_load_b64 v[0:1], v125 offset:18816
	v_add_f64_e64 v[44:45], v[176:177], -v[70:71]
	s_wait_loadcnt_dscnt 0x0
	v_mul_f64_e32 v[2:3], v[0:1], v[50:51]
	s_delay_alu instid0(VALU_DEP_1)
	v_fma_f64 v[4:5], v[14:15], v[48:49], -v[2:3]
	v_mul_f64_e32 v[2:3], v[14:15], v[50:51]
	s_clause 0x1
	scratch_store_b64 off, v[246:247], off offset:308
	scratch_store_b64 off, v[4:5], off offset:340
	v_fma_f64 v[238:239], v[0:1], v[48:49], v[2:3]
	v_mul_f64_e32 v[0:1], v[94:95], v[142:143]
	s_clause 0x1
	scratch_store_b64 off, v[236:237], off offset:444
	scratch_store_b64 off, v[238:239], off offset:460
	v_fma_f64 v[14:15], v[146:147], v[140:141], -v[0:1]
	v_mul_f64_e32 v[0:1], v[146:147], v[142:143]
	v_dual_mov_b32 v146, v226 :: v_dual_mov_b32 v147, v227
	v_dual_mov_b32 v227, v175 :: v_dual_mov_b32 v226, v174
	;; [unrolled: 1-line block ×3, first 2 shown]
	v_mov_b32_e32 v122, v28
	v_add_f64_e32 v[142:143], v[176:177], v[70:71]
	v_add_f64_e64 v[176:177], v[204:205], -v[26:27]
	v_add_f64_e32 v[24:25], v[14:15], v[148:149]
	v_fma_f64 v[94:95], v[94:95], v[140:141], v[0:1]
	v_lshlrev_b32_e32 v1, 3, v195
	v_dual_mov_b32 v195, v163 :: v_dual_mov_b32 v194, v162
	v_dual_mov_b32 v162, v252 :: v_dual_mov_b32 v163, v253
	v_mov_b32_e32 v116, v36
	v_add_f64_e32 v[36:37], v[204:205], v[26:27]
	v_dual_mov_b32 v253, v171 :: v_dual_and_b32 v0, 0xffff, v248
	v_dual_mov_b32 v252, v170 :: v_dual_mov_b32 v171, v133
	v_mov_b32_e32 v170, v132
	s_delay_alu instid0(VALU_DEP_3) | instskip(SKIP_1) | instid1(VALU_DEP_2)
	v_mul_u32_u24_e32 v0, 0x188, v0
	v_mov_b32_e32 v67, v29
	v_add3_u32 v248, 0, v0, v1
	v_add_f64_e32 v[0:1], v[18:19], v[150:151]
	v_add_f64_e64 v[46:47], v[94:95], -v[16:17]
	v_add_f64_e32 v[2:3], v[36:37], v[24:25]
	s_delay_alu instid0(VALU_DEP_3) | instskip(SKIP_2) | instid1(VALU_DEP_4)
	v_add_f64_e64 v[40:41], v[24:25], -v[0:1]
	v_add_f64_e64 v[42:43], v[0:1], -v[36:37]
	;; [unrolled: 1-line block ×3, first 2 shown]
	v_add_f64_e32 v[2:3], v[0:1], v[2:3]
	v_add_f64_e64 v[0:1], v[12:13], -v[20:21]
	v_mul_f64_e32 v[40:41], s[16:17], v[40:41]
	v_mul_f64_e32 v[36:37], s[22:23], v[42:43]
	s_delay_alu instid0(VALU_DEP_4) | instskip(NEXT) | instid1(VALU_DEP_4)
	v_add_f64_e32 v[32:33], v[32:33], v[2:3]
	v_add_f64_e64 v[50:51], v[0:1], -v[44:45]
	v_add_f64_e32 v[48:49], v[0:1], v[44:45]
	v_add_f64_e64 v[54:55], v[46:47], -v[0:1]
	v_fma_f64 v[0:1], v[42:43], s[22:23], v[40:41]
	v_fma_f64 v[36:37], v[24:25], s[12:13], -v[36:37]
	v_fma_f64 v[24:25], v[24:25], s[14:15], -v[40:41]
	v_fma_f64 v[56:57], v[2:3], s[18:19], v[32:33]
	v_mul_f64_e32 v[50:51], s[20:21], v[50:51]
	v_add_f64_e32 v[48:49], v[48:49], v[46:47]
	s_delay_alu instid0(VALU_DEP_3) | instskip(NEXT) | instid1(VALU_DEP_3)
	v_add_f64_e32 v[58:59], v[0:1], v[56:57]
	v_fma_f64 v[0:1], v[54:55], s[4:5], v[50:51]
	v_add_f64_e32 v[36:37], v[36:37], v[56:57]
	v_add_f64_e32 v[24:25], v[24:25], v[56:57]
	s_delay_alu instid0(VALU_DEP_3)
	v_fma_f64 v[60:61], v[48:49], s[0:1], v[0:1]
	ds_load_2addr_b64 v[0:3], v125 offset1:49
	ds_load_2addr_b64 v[102:105], v125 offset0:98 offset1:147
	ds_load_2addr_b64 v[98:101], v125 offset0:196 offset1:245
	global_wb scope:SCOPE_SE
	s_wait_storecnt_dscnt 0x0
	s_barrier_signal -1
	s_barrier_wait -1
	global_inv scope:SCOPE_SE
	s_clause 0x3
	scratch_load_b64 v[168:169], off, off offset:132 th:TH_LOAD_LU
	scratch_load_b64 v[118:119], off, off offset:124 th:TH_LOAD_LU
	;; [unrolled: 1-line block ×4, first 2 shown]
	v_add_f64_e32 v[62:63], v[60:61], v[58:59]
	ds_store_2addr_b64 v248, v[32:33], v[62:63] offset1:7
	v_add_f64_e64 v[32:33], v[44:45], -v[46:47]
	v_add_f64_e64 v[46:47], v[215:216], -v[186:187]
	s_delay_alu instid0(VALU_DEP_2) | instskip(SKIP_1) | instid1(VALU_DEP_2)
	v_mul_f64_e32 v[40:41], s[2:3], v[32:33]
	v_fma_f64 v[32:33], v[32:33], s[2:3], -v[50:51]
	v_fma_f64 v[40:41], v[54:55], s[10:11], -v[40:41]
	s_delay_alu instid0(VALU_DEP_2) | instskip(NEXT) | instid1(VALU_DEP_2)
	v_fma_f64 v[32:33], v[48:49], s[0:1], v[32:33]
	v_fma_f64 v[40:41], v[48:49], s[0:1], v[40:41]
	s_delay_alu instid0(VALU_DEP_2)
	v_add_f64_e64 v[44:45], v[36:37], -v[32:33]
	v_add_f64_e32 v[32:33], v[32:33], v[36:37]
	v_add_f64_e32 v[36:37], v[206:207], v[22:23]
	v_add_f64_e64 v[48:49], v[166:167], -v[220:221]
	v_add_f64_e32 v[42:43], v[40:41], v[24:25]
	v_add_f64_e64 v[24:25], v[24:25], -v[40:41]
	v_add_f64_e32 v[40:41], v[184:185], v[213:214]
	ds_store_2addr_b64 v248, v[42:43], v[44:45] offset0:14 offset1:21
	ds_store_2addr_b64 v248, v[32:33], v[24:25] offset0:28 offset1:35
	v_add_f64_e32 v[32:33], v[224:225], v[146:147]
	v_add_f64_e64 v[24:25], v[58:59], -v[60:61]
	v_add_f64_e64 v[44:45], v[211:212], -v[232:233]
	s_delay_alu instid0(VALU_DEP_3)
	v_add_f64_e32 v[42:43], v[36:37], v[32:33]
	ds_store_b64 v248, v[24:25] offset:336
	v_and_b32_e32 v24, 0xffff, v112
	v_lshlrev_b32_e32 v25, 3, v113
	v_add_f64_e64 v[54:55], v[46:47], -v[44:45]
	v_add_f64_e32 v[50:51], v[46:47], v[44:45]
	v_add_f64_e64 v[46:47], v[48:49], -v[46:47]
	v_mul_u32_u24_e32 v24, 0x188, v24
	s_delay_alu instid0(VALU_DEP_1)
	v_add3_u32 v141, 0, v24, v25
	v_add_f64_e64 v[24:25], v[32:33], -v[40:41]
	v_add_f64_e64 v[32:33], v[36:37], -v[32:33]
	v_add_f64_e32 v[42:43], v[40:41], v[42:43]
	v_add_f64_e64 v[40:41], v[40:41], -v[36:37]
	v_mul_f64_e32 v[54:55], s[20:21], v[54:55]
	v_add_f64_e32 v[50:51], v[50:51], v[48:49]
	v_mul_f64_e32 v[24:25], s[16:17], v[24:25]
	v_add_f64_e32 v[34:35], v[34:35], v[42:43]
	v_mul_f64_e32 v[36:37], s[22:23], v[40:41]
	v_fma_f64 v[58:59], v[46:47], s[4:5], v[54:55]
	s_delay_alu instid0(VALU_DEP_4) | instskip(SKIP_4) | instid1(VALU_DEP_3)
	v_fma_f64 v[56:57], v[40:41], s[22:23], v[24:25]
	v_fma_f64 v[24:25], v[32:33], s[14:15], -v[24:25]
	v_fma_f64 v[42:43], v[42:43], s[18:19], v[34:35]
	v_fma_f64 v[36:37], v[32:33], s[12:13], -v[36:37]
	v_fma_f64 v[58:59], v[50:51], s[0:1], v[58:59]
	v_add_f64_e32 v[56:57], v[56:57], v[42:43]
	s_delay_alu instid0(VALU_DEP_3) | instskip(SKIP_1) | instid1(VALU_DEP_3)
	v_add_f64_e32 v[36:37], v[36:37], v[42:43]
	v_add_f64_e32 v[24:25], v[24:25], v[42:43]
	;; [unrolled: 1-line block ×3, first 2 shown]
	ds_store_2addr_b64 v141, v[34:35], v[60:61] offset1:7
	v_add_f64_e64 v[34:35], v[44:45], -v[48:49]
	v_add_f64_e64 v[44:45], v[242:243], -v[174:175]
	s_delay_alu instid0(VALU_DEP_2) | instskip(SKIP_1) | instid1(VALU_DEP_2)
	v_mul_f64_e32 v[32:33], s[2:3], v[34:35]
	v_fma_f64 v[34:35], v[34:35], s[2:3], -v[54:55]
	v_fma_f64 v[32:33], v[46:47], s[10:11], -v[32:33]
	s_delay_alu instid0(VALU_DEP_2)
	v_fma_f64 v[34:35], v[50:51], s[0:1], v[34:35]
	v_add_f64_e64 v[46:47], v[164:165], -v[249:250]
	v_dual_mov_b32 v250, v135 :: v_dual_mov_b32 v249, v134
	scratch_load_b64 v[134:135], off, off offset:116 th:TH_LOAD_LU ; 8-byte Folded Reload
	v_fma_f64 v[32:33], v[50:51], s[0:1], v[32:33]
	v_add_f64_e64 v[42:43], v[36:37], -v[34:35]
	v_add_f64_e32 v[34:35], v[34:35], v[36:37]
	s_delay_alu instid0(VALU_DEP_3)
	v_add_f64_e32 v[40:41], v[32:33], v[24:25]
	v_add_f64_e64 v[24:25], v[24:25], -v[32:33]
	v_add_f64_e32 v[32:33], v[162:163], v[226:227]
	ds_store_2addr_b64 v141, v[40:41], v[42:43] offset0:14 offset1:21
	ds_store_2addr_b64 v141, v[34:35], v[24:25] offset0:28 offset1:35
	v_add_f64_e64 v[24:25], v[56:57], -v[58:59]
	v_add_f64_e32 v[34:35], v[252:253], v[234:235]
	v_add_f64_e64 v[42:43], v[160:161], -v[170:171]
	ds_store_b64 v141, v[24:25] offset:336
	v_and_b32_e32 v24, 0xffff, v106
	v_lshlrev_b32_e32 v25, 3, v107
	v_add_f64_e64 v[50:51], v[44:45], -v[42:43]
	v_add_f64_e32 v[48:49], v[44:45], v[42:43]
	v_add_f64_e64 v[44:45], v[46:47], -v[44:45]
	v_mul_u32_u24_e32 v24, 0x188, v24
	scratch_load_b64 v[106:107], off, off offset:108 th:TH_LOAD_LU ; 8-byte Folded Reload
	v_add3_u32 v128, 0, v24, v25
	v_add_f64_e32 v[24:25], v[194:195], v[152:153]
	scratch_load_b64 v[152:153], off, off offset:164 th:TH_LOAD_LU ; 8-byte Folded Reload
	v_mul_f64_e32 v[50:51], s[20:21], v[50:51]
	v_add_f64_e32 v[48:49], v[48:49], v[46:47]
	v_add_f64_e32 v[36:37], v[32:33], v[24:25]
	v_add_f64_e64 v[40:41], v[24:25], -v[34:35]
	v_add_f64_e64 v[24:25], v[32:33], -v[24:25]
	v_fma_f64 v[56:57], v[44:45], s[4:5], v[50:51]
	s_delay_alu instid0(VALU_DEP_4) | instskip(SKIP_2) | instid1(VALU_DEP_4)
	v_add_f64_e32 v[36:37], v[34:35], v[36:37]
	v_add_f64_e64 v[34:35], v[34:35], -v[32:33]
	v_mul_f64_e32 v[40:41], s[16:17], v[40:41]
	v_fma_f64 v[56:57], v[48:49], s[0:1], v[56:57]
	s_delay_alu instid0(VALU_DEP_4) | instskip(SKIP_4) | instid1(VALU_DEP_2)
	v_add_f64_e32 v[28:29], v[154:155], v[36:37]
	scratch_load_b64 v[154:155], off, off offset:156 th:TH_LOAD_LU ; 8-byte Folded Reload
	v_fma_f64 v[54:55], v[34:35], s[22:23], v[40:41]
	v_mul_f64_e32 v[32:33], s[22:23], v[34:35]
	v_fma_f64 v[36:37], v[36:37], s[18:19], v[28:29]
	v_fma_f64 v[32:33], v[24:25], s[12:13], -v[32:33]
	v_fma_f64 v[24:25], v[24:25], s[14:15], -v[40:41]
	s_delay_alu instid0(VALU_DEP_3) | instskip(NEXT) | instid1(VALU_DEP_3)
	v_add_f64_e32 v[54:55], v[54:55], v[36:37]
	v_add_f64_e32 v[32:33], v[32:33], v[36:37]
	s_delay_alu instid0(VALU_DEP_3) | instskip(NEXT) | instid1(VALU_DEP_3)
	v_add_f64_e32 v[24:25], v[24:25], v[36:37]
	v_add_f64_e32 v[58:59], v[56:57], v[54:55]
	ds_store_2addr_b64 v128, v[28:29], v[58:59] offset1:7
	v_add_f64_e64 v[28:29], v[42:43], -v[46:47]
	v_add_f64_e64 v[42:43], v[172:173], -v[110:111]
	s_delay_alu instid0(VALU_DEP_2) | instskip(SKIP_1) | instid1(VALU_DEP_2)
	v_mul_f64_e32 v[34:35], s[2:3], v[28:29]
	v_fma_f64 v[28:29], v[28:29], s[2:3], -v[50:51]
	v_fma_f64 v[34:35], v[44:45], s[10:11], -v[34:35]
	s_delay_alu instid0(VALU_DEP_2) | instskip(SKIP_1) | instid1(VALU_DEP_3)
	v_fma_f64 v[28:29], v[48:49], s[0:1], v[28:29]
	v_add_f64_e64 v[44:45], v[196:197], -v[182:183]
	v_fma_f64 v[34:35], v[48:49], s[0:1], v[34:35]
	s_delay_alu instid0(VALU_DEP_3)
	v_add_f64_e64 v[40:41], v[32:33], -v[28:29]
	v_add_f64_e32 v[28:29], v[28:29], v[32:33]
	v_add_f64_e32 v[32:33], v[254:255], v[30:31]
	scratch_load_b64 v[30:31], off, off     ; 8-byte Folded Reload
	v_add_f64_e32 v[36:37], v[34:35], v[24:25]
	v_add_f64_e64 v[24:25], v[24:25], -v[34:35]
	ds_store_2addr_b64 v128, v[36:37], v[40:41] offset0:14 offset1:21
	ds_store_2addr_b64 v128, v[28:29], v[24:25] offset0:28 offset1:35
	v_add_f64_e32 v[28:29], v[228:229], v[249:250]
	v_add_f64_e64 v[24:25], v[54:55], -v[56:57]
	s_wait_loadcnt 0x8
	v_add_f64_e64 v[40:41], v[168:169], -v[108:109]
	s_delay_alu instid0(VALU_DEP_3)
	v_add_f64_e32 v[36:37], v[32:33], v[28:29]
	ds_store_b64 v128, v[24:25] offset:336
	v_and_b32_e32 v24, 0xffff, v88
	v_lshlrev_b32_e32 v25, 3, v89
	v_add_f64_e64 v[48:49], v[42:43], -v[40:41]
	v_add_f64_e32 v[46:47], v[42:43], v[40:41]
	v_add_f64_e64 v[42:43], v[44:45], -v[42:43]
	v_mul_u32_u24_e32 v24, 0x188, v24
	s_delay_alu instid0(VALU_DEP_4) | instskip(NEXT) | instid1(VALU_DEP_4)
	v_mul_f64_e32 v[48:49], s[20:21], v[48:49]
	v_add_f64_e32 v[46:47], v[46:47], v[44:45]
	s_delay_alu instid0(VALU_DEP_2) | instskip(NEXT) | instid1(VALU_DEP_1)
	v_fma_f64 v[54:55], v[42:43], s[4:5], v[48:49]
	v_fma_f64 v[54:55], v[46:47], s[0:1], v[54:55]
	s_wait_loadcnt 0x0
	v_add_f64_e32 v[34:35], v[130:131], v[30:31]
	v_add3_u32 v131, 0, v24, v25
	s_delay_alu instid0(VALU_DEP_2) | instskip(SKIP_3) | instid1(VALU_DEP_4)
	v_add_f64_e32 v[36:37], v[34:35], v[36:37]
	v_add_f64_e64 v[24:25], v[28:29], -v[34:35]
	v_add_f64_e64 v[34:35], v[34:35], -v[32:33]
	;; [unrolled: 1-line block ×3, first 2 shown]
	v_add_f64_e32 v[30:31], v[156:157], v[36:37]
	s_delay_alu instid0(VALU_DEP_4) | instskip(NEXT) | instid1(VALU_DEP_4)
	v_mul_f64_e32 v[24:25], s[16:17], v[24:25]
	v_mul_f64_e32 v[32:33], s[22:23], v[34:35]
	v_dual_mov_b32 v156, v244 :: v_dual_mov_b32 v157, v245
	s_delay_alu instid0(VALU_DEP_4) | instskip(NEXT) | instid1(VALU_DEP_4)
	v_fma_f64 v[36:37], v[36:37], s[18:19], v[30:31]
	v_fma_f64 v[50:51], v[34:35], s[22:23], v[24:25]
	s_delay_alu instid0(VALU_DEP_4) | instskip(SKIP_1) | instid1(VALU_DEP_3)
	v_fma_f64 v[32:33], v[28:29], s[12:13], -v[32:33]
	v_fma_f64 v[24:25], v[28:29], s[14:15], -v[24:25]
	v_add_f64_e32 v[50:51], v[50:51], v[36:37]
	s_delay_alu instid0(VALU_DEP_3) | instskip(NEXT) | instid1(VALU_DEP_3)
	v_add_f64_e32 v[32:33], v[32:33], v[36:37]
	v_add_f64_e32 v[24:25], v[24:25], v[36:37]
	s_delay_alu instid0(VALU_DEP_3)
	v_add_f64_e32 v[56:57], v[54:55], v[50:51]
	ds_store_2addr_b64 v131, v[30:31], v[56:57] offset1:7
	v_add_f64_e64 v[30:31], v[40:41], -v[44:45]
	scratch_load_b128 v[56:59], off, off offset:92 th:TH_LOAD_LU ; 16-byte Folded Reload
	v_add_f64_e64 v[40:41], v[240:241], -v[156:157]
	v_mul_f64_e32 v[28:29], s[2:3], v[30:31]
	v_fma_f64 v[30:31], v[30:31], s[2:3], -v[48:49]
	s_delay_alu instid0(VALU_DEP_2) | instskip(NEXT) | instid1(VALU_DEP_2)
	v_fma_f64 v[28:29], v[42:43], s[10:11], -v[28:29]
	v_fma_f64 v[30:31], v[46:47], s[0:1], v[30:31]
	s_delay_alu instid0(VALU_DEP_2) | instskip(NEXT) | instid1(VALU_DEP_2)
	v_fma_f64 v[28:29], v[46:47], s[0:1], v[28:29]
	v_add_f64_e64 v[36:37], v[32:33], -v[30:31]
	v_add_f64_e32 v[30:31], v[30:31], v[32:33]
	s_delay_alu instid0(VALU_DEP_3)
	v_add_f64_e32 v[34:35], v[28:29], v[24:25]
	v_add_f64_e64 v[24:25], v[24:25], -v[28:29]
	v_add_f64_e32 v[28:29], v[230:231], v[180:181]
	ds_store_2addr_b64 v131, v[34:35], v[36:37] offset0:14 offset1:21
	ds_store_2addr_b64 v131, v[30:31], v[24:25] offset0:28 offset1:35
	v_add_f64_e64 v[24:25], v[50:51], -v[54:55]
	v_add_f64_e32 v[30:31], v[178:179], v[114:115]
	v_dual_mov_b32 v115, v73 :: v_dual_mov_b32 v114, v72
	v_add_f64_e64 v[36:37], v[209:210], -v[192:193]
	s_delay_alu instid0(VALU_DEP_2)
	v_add_f64_e64 v[42:43], v[118:119], -v[114:115]
	ds_store_b64 v131, v[24:25] offset:336
	v_and_b32_e32 v24, 0xffff, v76
	v_lshlrev_b32_e32 v25, 3, v77
	v_add_f64_e64 v[46:47], v[40:41], -v[36:37]
	v_add_f64_e32 v[44:45], v[40:41], v[36:37]
	s_delay_alu instid0(VALU_DEP_4) | instskip(SKIP_1) | instid1(VALU_DEP_2)
	v_mul_u32_u24_e32 v24, 0x188, v24
	v_add_f64_e64 v[40:41], v[42:43], -v[40:41]
	v_add3_u32 v140, 0, v24, v25
	v_add_f64_e32 v[24:25], v[120:121], v[158:159]
	v_dual_mov_b32 v159, v91 :: v_dual_mov_b32 v158, v90
	v_mul_f64_e32 v[46:47], s[20:21], v[46:47]
	v_add_f64_e32 v[44:45], v[44:45], v[42:43]
	s_delay_alu instid0(VALU_DEP_4) | instskip(SKIP_3) | instid1(VALU_DEP_4)
	v_add_f64_e32 v[32:33], v[28:29], v[24:25]
	v_add_f64_e64 v[34:35], v[24:25], -v[30:31]
	v_add_f64_e64 v[24:25], v[28:29], -v[24:25]
	v_fma_f64 v[54:55], v[40:41], s[4:5], v[46:47]
	v_add_f64_e32 v[32:33], v[30:31], v[32:33]
	v_add_f64_e64 v[30:31], v[30:31], -v[28:29]
	v_mul_f64_e32 v[34:35], s[16:17], v[34:35]
	v_add_f64_e64 v[28:29], v[36:37], -v[42:43]
	v_add_f64_e64 v[42:43], v[154:155], -v[8:9]
	v_fma_f64 v[54:55], v[44:45], s[0:1], v[54:55]
	s_wait_loadcnt 0x0
	v_add_f64_e32 v[48:49], v[56:57], v[32:33]
	v_fma_f64 v[50:51], v[30:31], s[22:23], v[34:35]
	v_mul_f64_e32 v[30:31], s[22:23], v[30:31]
	s_delay_alu instid0(VALU_DEP_3) | instskip(NEXT) | instid1(VALU_DEP_2)
	v_fma_f64 v[32:33], v[32:33], s[18:19], v[48:49]
	v_fma_f64 v[30:31], v[24:25], s[12:13], -v[30:31]
	v_fma_f64 v[24:25], v[24:25], s[14:15], -v[34:35]
	v_mul_f64_e32 v[34:35], s[2:3], v[28:29]
	v_fma_f64 v[28:29], v[28:29], s[2:3], -v[46:47]
	v_add_f64_e32 v[50:51], v[50:51], v[32:33]
	v_add_f64_e32 v[30:31], v[30:31], v[32:33]
	;; [unrolled: 1-line block ×3, first 2 shown]
	v_fma_f64 v[34:35], v[40:41], s[10:11], -v[34:35]
	v_fma_f64 v[28:29], v[44:45], s[0:1], v[28:29]
	v_add_f64_e64 v[40:41], v[134:135], -v[217:218]
	v_add_f64_e32 v[56:57], v[54:55], v[50:51]
	s_delay_alu instid0(VALU_DEP_4) | instskip(NEXT) | instid1(VALU_DEP_4)
	v_fma_f64 v[32:33], v[44:45], s[0:1], v[34:35]
	v_add_f64_e64 v[36:37], v[30:31], -v[28:29]
	v_add_f64_e32 v[28:29], v[28:29], v[30:31]
	v_add_f64_e32 v[30:31], v[152:153], v[96:97]
	;; [unrolled: 1-line block ×3, first 2 shown]
	ds_store_2addr_b64 v140, v[48:49], v[56:57] offset1:7
	v_add_f64_e64 v[48:49], v[42:43], -v[40:41]
	v_add_f64_e32 v[34:35], v[32:33], v[24:25]
	v_add_f64_e64 v[24:25], v[24:25], -v[32:33]
	v_add_f64_e32 v[32:33], v[222:223], v[158:159]
	v_dual_mov_b32 v223, v69 :: v_dual_mov_b32 v222, v68
	s_delay_alu instid0(VALU_DEP_1)
	v_add_f64_e64 v[44:45], v[222:223], -v[198:199]
	v_mul_f64_e32 v[48:49], s[20:21], v[48:49]
	ds_store_2addr_b64 v140, v[34:35], v[36:37] offset0:14 offset1:21
	ds_store_2addr_b64 v140, v[28:29], v[24:25] offset0:28 offset1:35
	v_add_f64_e64 v[24:25], v[50:51], -v[54:55]
	v_add_f64_e32 v[28:29], v[126:127], v[190:191]
	v_add_f64_e64 v[42:43], v[44:45], -v[42:43]
	v_add_f64_e32 v[46:47], v[46:47], v[44:45]
	ds_store_b64 v140, v[24:25] offset:336
	v_and_b32_e32 v24, 0xffff, v64
	v_lshlrev_b32_e32 v25, 3, v65
	v_add_f64_e32 v[34:35], v[30:31], v[28:29]
	s_delay_alu instid0(VALU_DEP_3) | instskip(SKIP_1) | instid1(VALU_DEP_2)
	v_mul_u32_u24_e32 v24, 0x188, v24
	v_fma_f64 v[54:55], v[42:43], s[4:5], v[48:49]
	v_add3_u32 v130, 0, v24, v25
	v_add_f64_e64 v[24:25], v[28:29], -v[32:33]
	v_add_f64_e64 v[28:29], v[30:31], -v[28:29]
	v_add_f64_e32 v[34:35], v[32:33], v[34:35]
	v_add_f64_e64 v[32:33], v[32:33], -v[30:31]
	v_add_f64_e64 v[30:31], v[40:41], -v[44:45]
	;; [unrolled: 1-line block ×3, first 2 shown]
	v_fma_f64 v[54:55], v[46:47], s[0:1], v[54:55]
	v_add_f64_e64 v[44:45], v[106:107], -v[238:239]
	v_mul_f64_e32 v[24:25], s[16:17], v[24:25]
	v_add_f64_e32 v[36:37], v[58:59], v[34:35]
	s_delay_alu instid0(VALU_DEP_2) | instskip(SKIP_2) | instid1(VALU_DEP_4)
	v_fma_f64 v[50:51], v[32:33], s[22:23], v[24:25]
	v_mul_f64_e32 v[32:33], s[22:23], v[32:33]
	v_fma_f64 v[24:25], v[28:29], s[14:15], -v[24:25]
	v_fma_f64 v[34:35], v[34:35], s[18:19], v[36:37]
	s_delay_alu instid0(VALU_DEP_3) | instskip(SKIP_2) | instid1(VALU_DEP_4)
	v_fma_f64 v[32:33], v[28:29], s[12:13], -v[32:33]
	v_mul_f64_e32 v[28:29], s[2:3], v[30:31]
	v_fma_f64 v[30:31], v[30:31], s[2:3], -v[48:49]
	v_add_f64_e32 v[50:51], v[50:51], v[34:35]
	v_add_f64_e32 v[24:25], v[24:25], v[34:35]
	;; [unrolled: 1-line block ×3, first 2 shown]
	v_fma_f64 v[28:29], v[42:43], s[10:11], -v[28:29]
	v_fma_f64 v[30:31], v[46:47], s[0:1], v[30:31]
	v_add_f64_e64 v[42:43], v[6:7], -v[80:81]
	v_add_f64_e32 v[7:8], v[20:21], v[12:13]
	v_add_f64_e64 v[12:13], v[150:151], -v[18:19]
	v_add_f64_e32 v[56:57], v[54:55], v[50:51]
	v_fma_f64 v[28:29], v[46:47], s[0:1], v[28:29]
	v_add_f64_e64 v[48:49], v[42:43], -v[40:41]
	v_add_f64_e32 v[46:47], v[42:43], v[40:41]
	v_add_f64_e64 v[42:43], v[44:45], -v[42:43]
	v_add_f64_e64 v[20:21], v[12:13], -v[176:177]
	v_add_f64_e32 v[18:19], v[12:13], v[176:177]
	ds_store_2addr_b64 v130, v[36:37], v[56:57] offset1:7
	v_add_f64_e64 v[36:37], v[32:33], -v[30:31]
	v_add_f64_e32 v[30:31], v[30:31], v[32:33]
	v_add_f64_e32 v[32:33], v[78:79], v[52:53]
	;; [unrolled: 1-line block ×3, first 2 shown]
	v_add_f64_e64 v[24:25], v[24:25], -v[28:29]
	v_add_f64_e32 v[28:29], v[132:133], v[4:5]
	v_mul_f64_e32 v[48:49], s[20:21], v[48:49]
	v_add_f64_e32 v[46:47], v[46:47], v[44:45]
	v_and_b32_e32 v4, 0xffff, v117
	v_lshlrev_b32_e32 v5, 3, v10
	v_add_f64_e64 v[9:10], v[14:15], -v[148:149]
	v_mul_f64_e32 v[240:241], s[20:21], v[20:21]
	v_mov_b32_e32 v20, v138
	v_mul_u32_u24_e32 v4, 0x188, v4
	s_delay_alu instid0(VALU_DEP_1)
	v_add3_u32 v4, 0, v4, v5
	v_add_f64_e32 v[5:6], v[94:95], v[16:17]
	ds_store_2addr_b64 v130, v[34:35], v[36:37] offset0:14 offset1:21
	ds_store_2addr_b64 v130, v[30:31], v[24:25] offset0:28 offset1:35
	v_add_f64_e32 v[30:31], v[74:75], v[246:247]
	v_add_f64_e64 v[24:25], v[50:51], -v[54:55]
	v_fma_f64 v[52:53], v[42:43], s[4:5], v[48:49]
	v_add_f64_e64 v[204:205], v[9:10], -v[12:13]
	v_add_f64_e32 v[236:237], v[18:19], v[9:10]
	v_add_f64_e32 v[14:15], v[142:143], v[5:6]
	;; [unrolled: 1-line block ×3, first 2 shown]
	ds_store_b64 v130, v[24:25] offset:336
	v_add_f64_e64 v[24:25], v[28:29], -v[32:33]
	v_fma_f64 v[52:53], v[46:47], s[0:1], v[52:53]
	v_add_f64_e64 v[28:29], v[30:31], -v[28:29]
	v_add_f64_e32 v[14:15], v[7:8], v[14:15]
	v_add_f64_e32 v[34:35], v[32:33], v[34:35]
	v_add_f64_e64 v[32:33], v[32:33], -v[30:31]
	v_mul_f64_e32 v[24:25], s[16:17], v[24:25]
	v_add_f64_e64 v[30:31], v[40:41], -v[44:45]
	v_add_f64_e32 v[0:1], v[0:1], v[14:15]
	v_add_f64_e32 v[36:37], v[144:145], v[34:35]
	s_delay_alu instid0(VALU_DEP_4) | instskip(SKIP_4) | instid1(VALU_DEP_4)
	v_fma_f64 v[50:51], v[32:33], s[22:23], v[24:25]
	v_mul_f64_e32 v[32:33], s[22:23], v[32:33]
	v_fma_f64 v[24:25], v[28:29], s[14:15], -v[24:25]
	v_fma_f64 v[242:243], v[14:15], s[18:19], v[0:1]
	v_fma_f64 v[34:35], v[34:35], s[18:19], v[36:37]
	v_fma_f64 v[32:33], v[28:29], s[12:13], -v[32:33]
	v_mul_f64_e32 v[28:29], s[2:3], v[30:31]
	v_fma_f64 v[30:31], v[30:31], s[2:3], -v[48:49]
	s_delay_alu instid0(VALU_DEP_4)
	v_add_f64_e32 v[50:51], v[50:51], v[34:35]
	v_add_f64_e32 v[24:25], v[24:25], v[34:35]
	;; [unrolled: 1-line block ×3, first 2 shown]
	v_fma_f64 v[28:29], v[42:43], s[10:11], -v[28:29]
	v_fma_f64 v[30:31], v[46:47], s[0:1], v[30:31]
	v_add_f64_e64 v[16:17], v[50:51], -v[52:53]
	v_add_f64_e32 v[54:55], v[52:53], v[50:51]
	s_delay_alu instid0(VALU_DEP_4)
	v_fma_f64 v[28:29], v[46:47], s[0:1], v[28:29]
	ds_store_b64 v4, v[16:17] offset:336
	v_add_f64_e64 v[16:17], v[5:6], -v[7:8]
	v_add_f64_e64 v[7:8], v[7:8], -v[142:143]
	ds_store_2addr_b64 v4, v[36:37], v[54:55] offset1:7
	v_add_f64_e32 v[34:35], v[28:29], v[24:25]
	v_add_f64_e64 v[36:37], v[32:33], -v[30:31]
	v_add_f64_e32 v[30:31], v[30:31], v[32:33]
	v_add_f64_e64 v[24:25], v[24:25], -v[28:29]
	v_mul_f64_e32 v[238:239], s[16:17], v[16:17]
	ds_store_2addr_b64 v4, v[34:35], v[36:37] offset0:14 offset1:21
	v_mov_b32_e32 v36, v116
	ds_store_2addr_b64 v4, v[30:31], v[24:25] offset0:28 offset1:35
	global_wb scope:SCOPE_SE
	s_wait_dscnt 0x0
	s_barrier_signal -1
	s_barrier_wait -1
	global_inv scope:SCOPE_SE
	v_dual_mov_b32 v24, v219 :: v_dual_mov_b32 v37, v123
	v_fma_f64 v[11:12], v[7:8], s[22:23], v[238:239]
	v_mul_f64_e32 v[7:8], s[22:23], v[7:8]
	s_delay_alu instid0(VALU_DEP_2) | instskip(SKIP_1) | instid1(VALU_DEP_1)
	v_add_f64_e32 v[244:245], v[11:12], v[242:243]
	v_fma_f64 v[11:12], v[204:205], s[4:5], v[240:241]
	v_fma_f64 v[246:247], v[236:237], s[0:1], v[11:12]
	ds_load_b64 v[11:12], v125 offset:18816
	s_wait_dscnt 0x0
	scratch_store_b64 off, v[11:12], off offset:92 ; 8-byte Folded Spill
	ds_load_2addr_b64 v[11:14], v125 offset1:49
	s_wait_dscnt 0x0
	scratch_store_b128 off, v[11:14], off offset:52 ; 16-byte Folded Spill
	ds_load_2addr_b64 v[11:14], v66 offset0:38 offset1:87
	s_wait_dscnt 0x0
	scratch_store_b128 off, v[11:14], off offset:76 ; 16-byte Folded Spill
	ds_load_2addr_b64 v[94:97], v219 offset0:174 offset1:223
	ds_load_2addr_b64 v[32:35], v67 offset0:84 offset1:133
	;; [unrolled: 1-line block ×9, first 2 shown]
	v_dual_mov_b32 v219, v208 :: v_dual_mov_b32 v208, v136
	s_wait_dscnt 0x0
	scratch_store_b128 off, v[11:14], off offset:36 ; 16-byte Folded Spill
	ds_load_2addr_b64 v[80:83], v137 offset0:16 offset1:65
	ds_load_2addr_b64 v[76:79], v219 offset0:190 offset1:239
	;; [unrolled: 1-line block ×4, first 2 shown]
	v_add_f64_e64 v[116:117], v[244:245], -v[246:247]
	ds_load_2addr_b64 v[64:67], v138 offset0:152 offset1:201
	ds_load_2addr_b64 v[60:63], v123 offset0:70 offset1:119
	;; [unrolled: 1-line block ×3, first 2 shown]
	v_mov_b32_e32 v11, v137
	s_wait_dscnt 0x0
	scratch_store_b128 off, v[12:15], off offset:20 ; 16-byte Folded Spill
	ds_load_2addr_b64 v[56:59], v137 offset0:114 offset1:163
	ds_load_2addr_b64 v[52:55], v189 offset0:32 offset1:81
	;; [unrolled: 1-line block ×4, first 2 shown]
	v_mov_b32_e32 v189, v24
	ds_load_2addr_b64 v[12:15], v139 offset0:122 offset1:171
	ds_load_2addr_b64 v[24:27], v123 offset0:168 offset1:217
	global_wb scope:SCOPE_SE
	s_wait_storecnt_dscnt 0x0
	s_barrier_signal -1
	s_barrier_wait -1
	global_inv scope:SCOPE_SE
	v_add_f64_e64 v[122:123], v[213:214], -v[184:185]
	ds_store_2addr_b64 v248, v[0:1], v[116:117] offset1:7
	v_add_f64_e64 v[0:1], v[142:143], -v[5:6]
	v_add_f64_e64 v[5:6], v[176:177], -v[9:10]
	s_delay_alu instid0(VALU_DEP_2) | instskip(NEXT) | instid1(VALU_DEP_2)
	v_fma_f64 v[7:8], v[0:1], s[12:13], -v[7:8]
	v_mul_f64_e32 v[9:10], s[2:3], v[5:6]
	v_fma_f64 v[0:1], v[0:1], s[14:15], -v[238:239]
	v_fma_f64 v[5:6], v[5:6], s[2:3], -v[240:241]
	s_delay_alu instid0(VALU_DEP_4) | instskip(NEXT) | instid1(VALU_DEP_4)
	v_add_f64_e32 v[7:8], v[7:8], v[242:243]
	v_fma_f64 v[9:10], v[204:205], s[10:11], -v[9:10]
	s_delay_alu instid0(VALU_DEP_4) | instskip(NEXT) | instid1(VALU_DEP_4)
	v_add_f64_e32 v[0:1], v[0:1], v[242:243]
	v_fma_f64 v[5:6], v[236:237], s[0:1], v[5:6]
	s_delay_alu instid0(VALU_DEP_3) | instskip(NEXT) | instid1(VALU_DEP_2)
	v_fma_f64 v[9:10], v[236:237], s[0:1], v[9:10]
	v_add_f64_e32 v[142:143], v[5:6], v[7:8]
	v_add_f64_e64 v[5:6], v[7:8], -v[5:6]
	v_add_f64_e64 v[7:8], v[224:225], -v[146:147]
	s_delay_alu instid0(VALU_DEP_4)
	v_add_f64_e64 v[116:117], v[0:1], -v[9:10]
	v_add_f64_e32 v[0:1], v[9:10], v[0:1]
	v_add_f64_e64 v[9:10], v[206:207], -v[22:23]
	ds_store_2addr_b64 v248, v[116:117], v[142:143] offset0:14 offset1:21
	ds_store_2addr_b64 v248, v[5:6], v[0:1] offset0:28 offset1:35
	v_add_f64_e32 v[0:1], v[246:247], v[244:245]
	v_add_f64_e32 v[5:6], v[211:212], v[232:233]
	v_add_f64_e32 v[116:117], v[186:187], v[215:216]
	v_add_f64_e64 v[144:145], v[122:123], -v[9:10]
	v_add_f64_e32 v[142:143], v[122:123], v[9:10]
	v_add_f64_e64 v[122:123], v[7:8], -v[122:123]
	ds_store_b64 v248, v[0:1] offset:336
	v_add_f64_e32 v[0:1], v[166:167], v[220:221]
	v_mul_f64_e32 v[144:145], s[20:21], v[144:145]
	v_add_f64_e32 v[142:143], v[142:143], v[7:8]
	s_delay_alu instid0(VALU_DEP_3) | instskip(SKIP_1) | instid1(VALU_DEP_4)
	v_add_f64_e32 v[136:137], v[5:6], v[0:1]
	v_add_f64_e64 v[138:139], v[0:1], -v[116:117]
	v_fma_f64 v[148:149], v[122:123], s[4:5], v[144:145]
	v_add_f64_e64 v[0:1], v[5:6], -v[0:1]
	s_delay_alu instid0(VALU_DEP_4) | instskip(SKIP_3) | instid1(VALU_DEP_4)
	v_add_f64_e32 v[136:137], v[116:117], v[136:137]
	v_add_f64_e64 v[116:117], v[116:117], -v[5:6]
	v_mul_f64_e32 v[138:139], s[16:17], v[138:139]
	v_fma_f64 v[148:149], v[142:143], s[0:1], v[148:149]
	v_add_f64_e32 v[2:3], v[2:3], v[136:137]
	s_delay_alu instid0(VALU_DEP_4) | instskip(NEXT) | instid1(VALU_DEP_4)
	v_mul_f64_e32 v[5:6], s[22:23], v[116:117]
	v_fma_f64 v[146:147], v[116:117], s[22:23], v[138:139]
	s_delay_alu instid0(VALU_DEP_3) | instskip(NEXT) | instid1(VALU_DEP_3)
	v_fma_f64 v[136:137], v[136:137], s[18:19], v[2:3]
	v_fma_f64 v[5:6], v[0:1], s[12:13], -v[5:6]
	v_fma_f64 v[0:1], v[0:1], s[14:15], -v[138:139]
	s_delay_alu instid0(VALU_DEP_3) | instskip(NEXT) | instid1(VALU_DEP_3)
	v_add_f64_e32 v[146:147], v[146:147], v[136:137]
	v_add_f64_e32 v[5:6], v[5:6], v[136:137]
	s_delay_alu instid0(VALU_DEP_3) | instskip(NEXT) | instid1(VALU_DEP_3)
	v_add_f64_e32 v[0:1], v[0:1], v[136:137]
	v_add_f64_e64 v[150:151], v[146:147], -v[148:149]
	ds_store_2addr_b64 v141, v[2:3], v[150:151] offset1:7
	v_add_f64_e64 v[2:3], v[9:10], -v[7:8]
	s_delay_alu instid0(VALU_DEP_1) | instskip(SKIP_1) | instid1(VALU_DEP_2)
	v_fma_f64 v[7:8], v[2:3], s[2:3], -v[144:145]
	v_mul_f64_e32 v[2:3], s[2:3], v[2:3]
	v_fma_f64 v[7:8], v[142:143], s[0:1], v[7:8]
	s_delay_alu instid0(VALU_DEP_2) | instskip(NEXT) | instid1(VALU_DEP_2)
	v_fma_f64 v[2:3], v[122:123], s[10:11], -v[2:3]
	v_add_f64_e32 v[9:10], v[7:8], v[5:6]
	s_delay_alu instid0(VALU_DEP_2) | instskip(SKIP_2) | instid1(VALU_DEP_3)
	v_fma_f64 v[2:3], v[142:143], s[0:1], v[2:3]
	v_add_f64_e64 v[5:6], v[5:6], -v[7:8]
	v_add_f64_e64 v[7:8], v[162:163], -v[226:227]
	;; [unrolled: 1-line block ×3, first 2 shown]
	v_add_f64_e32 v[0:1], v[2:3], v[0:1]
	v_add_f64_e32 v[2:3], v[160:161], v[170:171]
	ds_store_2addr_b64 v141, v[116:117], v[9:10] offset0:14 offset1:21
	ds_store_2addr_b64 v141, v[5:6], v[0:1] offset0:28 offset1:35
	v_add_f64_e32 v[0:1], v[148:149], v[146:147]
	s_clause 0x1
	scratch_load_b64 v[5:6], off, off offset:196 th:TH_LOAD_LU
	scratch_load_b64 v[9:10], off, off offset:212 th:TH_LOAD_LU
	v_add_f64_e64 v[116:117], v[234:235], -v[252:253]
	ds_store_b64 v141, v[0:1] offset:336
	scratch_load_b64 v[0:1], off, off offset:356 th:TH_LOAD_LU ; 8-byte Folded Reload
	v_add_f64_e64 v[141:142], v[116:117], -v[7:8]
	v_add_f64_e32 v[138:139], v[116:117], v[7:8]
	s_delay_alu instid0(VALU_DEP_2)
	v_mul_f64_e32 v[141:142], s[20:21], v[141:142]
	s_wait_loadcnt 0x2
	v_add_f64_e64 v[5:6], v[194:195], -v[5:6]
	s_wait_loadcnt 0x1
	v_add_f64_e32 v[9:10], v[174:175], v[9:10]
	s_wait_loadcnt 0x0
	v_add_f64_e32 v[0:1], v[164:165], v[0:1]
	s_delay_alu instid0(VALU_DEP_3) | instskip(SKIP_1) | instid1(VALU_DEP_3)
	v_add_f64_e64 v[116:117], v[5:6], -v[116:117]
	v_add_f64_e32 v[138:139], v[138:139], v[5:6]
	v_add_f64_e32 v[122:123], v[2:3], v[0:1]
	v_add_f64_e64 v[136:137], v[0:1], -v[9:10]
	v_add_f64_e64 v[0:1], v[2:3], -v[0:1]
	v_fma_f64 v[145:146], v[116:117], s[4:5], v[141:142]
	s_delay_alu instid0(VALU_DEP_4)
	v_add_f64_e32 v[122:123], v[9:10], v[122:123]
	v_add_f64_e64 v[9:10], v[9:10], -v[2:3]
	v_mul_f64_e32 v[136:137], s[16:17], v[136:137]
	v_add_f64_e64 v[2:3], v[7:8], -v[5:6]
	v_fma_f64 v[145:146], v[138:139], s[0:1], v[145:146]
	v_add_f64_e32 v[102:103], v[102:103], v[122:123]
	v_mul_f64_e32 v[5:6], s[22:23], v[9:10]
	v_fma_f64 v[143:144], v[9:10], s[22:23], v[136:137]
	v_fma_f64 v[7:8], v[2:3], s[2:3], -v[141:142]
	v_mul_f64_e32 v[2:3], s[2:3], v[2:3]
	v_fma_f64 v[122:123], v[122:123], s[18:19], v[102:103]
	v_fma_f64 v[5:6], v[0:1], s[12:13], -v[5:6]
	v_fma_f64 v[0:1], v[0:1], s[14:15], -v[136:137]
	v_fma_f64 v[7:8], v[138:139], s[0:1], v[7:8]
	v_fma_f64 v[2:3], v[116:117], s[10:11], -v[2:3]
	v_add_f64_e32 v[143:144], v[143:144], v[122:123]
	v_add_f64_e32 v[5:6], v[5:6], v[122:123]
	v_add_f64_e32 v[0:1], v[0:1], v[122:123]
	s_delay_alu instid0(VALU_DEP_4) | instskip(NEXT) | instid1(VALU_DEP_4)
	v_fma_f64 v[2:3], v[138:139], s[0:1], v[2:3]
	v_add_f64_e64 v[147:148], v[143:144], -v[145:146]
	s_delay_alu instid0(VALU_DEP_4)
	v_add_f64_e32 v[9:10], v[7:8], v[5:6]
	v_add_f64_e64 v[5:6], v[5:6], -v[7:8]
	scratch_load_b64 v[7:8], off, off offset:180 th:TH_LOAD_LU ; 8-byte Folded Reload
	ds_store_2addr_b64 v128, v[102:103], v[147:148] offset1:7
	v_add_f64_e64 v[102:103], v[0:1], -v[2:3]
	v_add_f64_e32 v[0:1], v[2:3], v[0:1]
	v_add_f64_e32 v[2:3], v[168:169], v[108:109]
	ds_store_2addr_b64 v128, v[102:103], v[9:10] offset0:14 offset1:21
	scratch_load_b64 v[9:10], off, off offset:372 th:TH_LOAD_LU ; 8-byte Folded Reload
	ds_store_2addr_b64 v128, v[5:6], v[0:1] offset0:28 offset1:35
	v_add_f64_e32 v[0:1], v[145:146], v[143:144]
	v_add_f64_e64 v[5:6], v[228:229], -v[249:250]
	ds_store_b64 v128, v[0:1] offset:336
	s_clause 0x1
	scratch_load_b64 v[21:22], off, off th:TH_LOAD_LU
	scratch_load_b64 v[102:103], off, off offset:172 th:TH_LOAD_LU
	v_add_f64_e32 v[0:1], v[196:197], v[182:183]
	s_delay_alu instid0(VALU_DEP_1) | instskip(SKIP_4) | instid1(VALU_DEP_1)
	v_add_f64_e32 v[108:109], v[2:3], v[0:1]
	s_wait_loadcnt 0x3
	v_add_f64_e64 v[7:8], v[254:255], -v[7:8]
	s_wait_loadcnt 0x2
	v_add_f64_e32 v[9:10], v[9:10], v[172:173]
	v_add_f64_e32 v[108:109], v[9:10], v[108:109]
	v_add_f64_e64 v[116:117], v[0:1], -v[9:10]
	v_add_f64_e64 v[9:10], v[9:10], -v[2:3]
	s_wait_loadcnt 0x0
	v_add_f64_e64 v[102:103], v[21:22], -v[102:103]
	v_add_f64_e64 v[0:1], v[2:3], -v[0:1]
	;; [unrolled: 1-line block ×3, first 2 shown]
	v_add_f64_e32 v[104:105], v[104:105], v[108:109]
	v_mul_f64_e32 v[116:117], s[16:17], v[116:117]
	v_add_f64_e64 v[136:137], v[102:103], -v[7:8]
	v_add_f64_e32 v[122:123], v[102:103], v[7:8]
	v_add_f64_e64 v[102:103], v[5:6], -v[102:103]
	v_fma_f64 v[108:109], v[108:109], s[18:19], v[104:105]
	v_fma_f64 v[138:139], v[9:10], s[22:23], v[116:117]
	v_mul_f64_e32 v[136:137], s[20:21], v[136:137]
	v_add_f64_e32 v[122:123], v[122:123], v[5:6]
	v_mul_f64_e32 v[5:6], s[22:23], v[9:10]
	s_delay_alu instid0(VALU_DEP_4) | instskip(NEXT) | instid1(VALU_DEP_4)
	v_add_f64_e32 v[138:139], v[138:139], v[108:109]
	v_fma_f64 v[7:8], v[2:3], s[2:3], -v[136:137]
	v_mul_f64_e32 v[2:3], s[2:3], v[2:3]
	s_delay_alu instid0(VALU_DEP_4)
	v_fma_f64 v[5:6], v[0:1], s[12:13], -v[5:6]
	v_fma_f64 v[0:1], v[0:1], s[14:15], -v[116:117]
	v_fma_f64 v[141:142], v[102:103], s[4:5], v[136:137]
	v_fma_f64 v[7:8], v[122:123], s[0:1], v[7:8]
	v_fma_f64 v[2:3], v[102:103], s[10:11], -v[2:3]
	v_add_f64_e32 v[5:6], v[5:6], v[108:109]
	v_add_f64_e32 v[0:1], v[0:1], v[108:109]
	v_fma_f64 v[141:142], v[122:123], s[0:1], v[141:142]
	s_delay_alu instid0(VALU_DEP_4) | instskip(NEXT) | instid1(VALU_DEP_4)
	v_fma_f64 v[2:3], v[122:123], s[0:1], v[2:3]
	v_add_f64_e32 v[9:10], v[7:8], v[5:6]
	v_add_f64_e64 v[5:6], v[5:6], -v[7:8]
	s_delay_alu instid0(VALU_DEP_4)
	v_add_f64_e64 v[143:144], v[138:139], -v[141:142]
	v_add_f64_e64 v[7:8], v[230:231], -v[180:181]
	;; [unrolled: 1-line block ×3, first 2 shown]
	v_add_f64_e32 v[0:1], v[2:3], v[0:1]
	v_add_f64_e32 v[2:3], v[209:210], v[192:193]
	ds_store_2addr_b64 v131, v[104:105], v[143:144] offset1:7
	ds_store_2addr_b64 v131, v[102:103], v[9:10] offset0:14 offset1:21
	ds_store_2addr_b64 v131, v[5:6], v[0:1] offset0:28 offset1:35
	s_clause 0x2
	scratch_load_b64 v[5:6], off, off offset:260 th:TH_LOAD_LU
	scratch_load_b64 v[9:10], off, off offset:388 th:TH_LOAD_LU
	;; [unrolled: 1-line block ×3, first 2 shown]
	v_add_f64_e32 v[0:1], v[141:142], v[138:139]
	ds_store_b64 v131, v[0:1] offset:336
	v_add_f64_e32 v[0:1], v[118:119], v[114:115]
	s_delay_alu instid0(VALU_DEP_1)
	v_add_f64_e32 v[104:105], v[2:3], v[0:1]
	s_wait_loadcnt 0x2
	v_add_f64_e64 v[5:6], v[120:121], -v[5:6]
	s_wait_loadcnt 0x1
	v_add_f64_e32 v[9:10], v[156:157], v[9:10]
	s_wait_loadcnt 0x0
	v_add_f64_e64 v[102:103], v[21:22], -v[178:179]
	s_delay_alu instid0(VALU_DEP_2) | instskip(SKIP_1) | instid1(VALU_DEP_3)
	v_add_f64_e32 v[104:105], v[9:10], v[104:105]
	v_add_f64_e64 v[108:109], v[0:1], -v[9:10]
	v_add_f64_e64 v[122:123], v[102:103], -v[7:8]
	;; [unrolled: 1-line block ×3, first 2 shown]
	v_add_f64_e32 v[116:117], v[102:103], v[7:8]
	v_add_f64_e64 v[102:103], v[5:6], -v[102:103]
	v_add_f64_e64 v[0:1], v[2:3], -v[0:1]
	;; [unrolled: 1-line block ×3, first 2 shown]
	v_add_f64_e32 v[98:99], v[98:99], v[104:105]
	v_mul_f64_e32 v[108:109], s[16:17], v[108:109]
	v_mul_f64_e32 v[122:123], s[20:21], v[122:123]
	v_add_f64_e32 v[116:117], v[116:117], v[5:6]
	v_mul_f64_e32 v[5:6], s[22:23], v[9:10]
	v_fma_f64 v[104:105], v[104:105], s[18:19], v[98:99]
	v_fma_f64 v[136:137], v[9:10], s[22:23], v[108:109]
	;; [unrolled: 1-line block ×3, first 2 shown]
	v_fma_f64 v[7:8], v[2:3], s[2:3], -v[122:123]
	v_mul_f64_e32 v[2:3], s[2:3], v[2:3]
	v_fma_f64 v[5:6], v[0:1], s[12:13], -v[5:6]
	v_fma_f64 v[0:1], v[0:1], s[14:15], -v[108:109]
	v_add_f64_e32 v[136:137], v[136:137], v[104:105]
	v_fma_f64 v[138:139], v[116:117], s[0:1], v[138:139]
	v_fma_f64 v[7:8], v[116:117], s[0:1], v[7:8]
	v_fma_f64 v[2:3], v[102:103], s[10:11], -v[2:3]
	v_add_f64_e32 v[5:6], v[5:6], v[104:105]
	v_add_f64_e32 v[0:1], v[0:1], v[104:105]
	v_add_f64_e64 v[141:142], v[136:137], -v[138:139]
	s_delay_alu instid0(VALU_DEP_4) | instskip(NEXT) | instid1(VALU_DEP_4)
	v_fma_f64 v[2:3], v[116:117], s[0:1], v[2:3]
	v_add_f64_e32 v[9:10], v[7:8], v[5:6]
	v_add_f64_e64 v[5:6], v[5:6], -v[7:8]
	scratch_load_b64 v[7:8], off, off offset:236 th:TH_LOAD_LU ; 8-byte Folded Reload
	ds_store_2addr_b64 v140, v[98:99], v[141:142] offset1:7
	v_add_f64_e64 v[98:99], v[0:1], -v[2:3]
	v_add_f64_e32 v[0:1], v[2:3], v[0:1]
	scratch_load_b64 v[2:3], off, off offset:412 th:TH_LOAD_LU ; 8-byte Folded Reload
	ds_store_2addr_b64 v140, v[98:99], v[9:10] offset0:14 offset1:21
	s_clause 0x1
	scratch_load_b64 v[9:10], off, off offset:396 th:TH_LOAD_LU
	scratch_load_b64 v[21:22], off, off offset:228 th:TH_LOAD_LU
	ds_store_2addr_b64 v140, v[5:6], v[0:1] offset0:28 offset1:35
	v_add_f64_e32 v[0:1], v[138:139], v[136:137]
	v_add_f64_e64 v[5:6], v[126:127], -v[190:191]
	ds_store_b64 v140, v[0:1] offset:336
	v_add_f64_e32 v[0:1], v[222:223], v[198:199]
	s_wait_loadcnt 0x3
	v_add_f64_e64 v[7:8], v[152:153], -v[7:8]
	s_wait_loadcnt 0x2
	v_add_f64_e32 v[2:3], v[134:135], v[2:3]
	s_wait_loadcnt 0x1
	v_add_f64_e32 v[9:10], v[9:10], v[154:155]
	s_wait_loadcnt 0x0
	v_add_f64_e64 v[98:99], v[158:159], -v[21:22]
	s_delay_alu instid0(VALU_DEP_3) | instskip(NEXT) | instid1(VALU_DEP_3)
	v_add_f64_e32 v[102:103], v[2:3], v[0:1]
	v_add_f64_e64 v[104:105], v[0:1], -v[9:10]
	s_delay_alu instid0(VALU_DEP_3) | instskip(NEXT) | instid1(VALU_DEP_3)
	v_add_f64_e64 v[114:115], v[98:99], -v[7:8]
	v_add_f64_e32 v[102:103], v[9:10], v[102:103]
	v_add_f64_e64 v[9:10], v[9:10], -v[2:3]
	v_add_f64_e32 v[108:109], v[98:99], v[7:8]
	v_add_f64_e64 v[0:1], v[2:3], -v[0:1]
	v_add_f64_e64 v[2:3], v[7:8], -v[5:6]
	;; [unrolled: 1-line block ×3, first 2 shown]
	v_mul_f64_e32 v[104:105], s[16:17], v[104:105]
	v_mul_f64_e32 v[114:115], s[20:21], v[114:115]
	v_add_f64_e32 v[100:101], v[100:101], v[102:103]
	v_add_f64_e32 v[108:109], v[108:109], v[5:6]
	v_mul_f64_e32 v[5:6], s[22:23], v[9:10]
	v_fma_f64 v[116:117], v[9:10], s[22:23], v[104:105]
	v_fma_f64 v[7:8], v[2:3], s[2:3], -v[114:115]
	v_mul_f64_e32 v[2:3], s[2:3], v[2:3]
	v_fma_f64 v[102:103], v[102:103], s[18:19], v[100:101]
	v_fma_f64 v[122:123], v[98:99], s[4:5], v[114:115]
	v_fma_f64 v[5:6], v[0:1], s[12:13], -v[5:6]
	v_fma_f64 v[0:1], v[0:1], s[14:15], -v[104:105]
	v_fma_f64 v[7:8], v[108:109], s[0:1], v[7:8]
	v_fma_f64 v[2:3], v[98:99], s[10:11], -v[2:3]
	v_add_f64_e32 v[116:117], v[116:117], v[102:103]
	v_fma_f64 v[122:123], v[108:109], s[0:1], v[122:123]
	v_add_f64_e32 v[5:6], v[5:6], v[102:103]
	v_add_f64_e32 v[0:1], v[0:1], v[102:103]
	v_fma_f64 v[2:3], v[108:109], s[0:1], v[2:3]
	s_delay_alu instid0(VALU_DEP_4) | instskip(NEXT) | instid1(VALU_DEP_4)
	v_add_f64_e64 v[136:137], v[116:117], -v[122:123]
	v_add_f64_e32 v[9:10], v[7:8], v[5:6]
	v_add_f64_e64 v[5:6], v[5:6], -v[7:8]
	s_delay_alu instid0(VALU_DEP_4)
	v_add_f64_e64 v[98:99], v[0:1], -v[2:3]
	v_add_f64_e32 v[0:1], v[2:3], v[0:1]
	ds_store_2addr_b64 v130, v[100:101], v[136:137] offset1:7
	ds_store_2addr_b64 v130, v[98:99], v[9:10] offset0:14 offset1:21
	ds_store_2addr_b64 v130, v[5:6], v[0:1] offset0:28 offset1:35
	v_add_f64_e32 v[0:1], v[122:123], v[116:117]
	ds_store_b64 v130, v[0:1] offset:336
	s_clause 0x2
	scratch_load_b64 v[0:1], off, off offset:460 th:TH_LOAD_LU
	scratch_load_b64 v[2:3], off, off offset:444 th:TH_LOAD_LU
	;; [unrolled: 1-line block ×3, first 2 shown]
	s_wait_loadcnt 0x2
	v_add_f64_e32 v[0:1], v[106:107], v[0:1]
	s_wait_loadcnt 0x0
	v_add_f64_e32 v[2:3], v[5:6], v[2:3]
	s_clause 0x2
	scratch_load_b64 v[5:6], off, off offset:340 th:TH_LOAD_LU
	scratch_load_b64 v[7:8], off, off offset:308 th:TH_LOAD_LU
	;; [unrolled: 1-line block ×3, first 2 shown]
	v_add_f64_e32 v[100:101], v[2:3], v[0:1]
	s_wait_loadcnt 0x2
	v_add_f64_e64 v[5:6], v[132:133], -v[5:6]
	s_wait_loadcnt 0x0
	v_add_f64_e64 v[7:8], v[9:10], -v[7:8]
	s_clause 0x1
	scratch_load_b64 v[9:10], off, off offset:428 th:TH_LOAD_LU
	scratch_load_b64 v[21:22], off, off offset:436 th:TH_LOAD_LU
	s_wait_loadcnt 0x0
	v_add_f64_e32 v[9:10], v[21:22], v[9:10]
	s_clause 0x1
	scratch_load_b64 v[21:22], off, off offset:276 th:TH_LOAD_LU
	scratch_load_b64 v[98:99], off, off offset:292 th:TH_LOAD_LU
	v_add_f64_e32 v[100:101], v[9:10], v[100:101]
	v_add_f64_e64 v[102:103], v[0:1], -v[9:10]
	v_add_f64_e64 v[9:10], v[9:10], -v[2:3]
	;; [unrolled: 1-line block ×4, first 2 shown]
	v_add_f64_e32 v[92:93], v[92:93], v[100:101]
	v_mul_f64_e32 v[102:103], s[16:17], v[102:103]
	s_delay_alu instid0(VALU_DEP_2) | instskip(NEXT) | instid1(VALU_DEP_2)
	v_fma_f64 v[100:101], v[100:101], s[18:19], v[92:93]
	v_fma_f64 v[114:115], v[9:10], s[22:23], v[102:103]
	s_delay_alu instid0(VALU_DEP_1) | instskip(SKIP_3) | instid1(VALU_DEP_2)
	v_add_f64_e32 v[114:115], v[114:115], v[100:101]
	s_wait_loadcnt 0x0
	v_add_f64_e64 v[98:99], v[21:22], -v[98:99]
	v_dual_mov_b32 v21, v219 :: v_dual_mov_b32 v22, v11
	v_add_f64_e64 v[108:109], v[98:99], -v[7:8]
	v_add_f64_e32 v[104:105], v[98:99], v[7:8]
	v_add_f64_e64 v[98:99], v[5:6], -v[98:99]
	s_delay_alu instid0(VALU_DEP_3) | instskip(NEXT) | instid1(VALU_DEP_3)
	v_mul_f64_e32 v[108:109], s[20:21], v[108:109]
	v_add_f64_e32 v[104:105], v[104:105], v[5:6]
	v_mul_f64_e32 v[5:6], s[22:23], v[9:10]
	s_delay_alu instid0(VALU_DEP_3) | instskip(SKIP_2) | instid1(VALU_DEP_4)
	v_fma_f64 v[116:117], v[98:99], s[4:5], v[108:109]
	v_fma_f64 v[7:8], v[2:3], s[2:3], -v[108:109]
	v_mul_f64_e32 v[2:3], s[2:3], v[2:3]
	v_fma_f64 v[5:6], v[0:1], s[12:13], -v[5:6]
	v_fma_f64 v[0:1], v[0:1], s[14:15], -v[102:103]
	v_fma_f64 v[116:117], v[104:105], s[0:1], v[116:117]
	v_fma_f64 v[7:8], v[104:105], s[0:1], v[7:8]
	v_fma_f64 v[2:3], v[98:99], s[10:11], -v[2:3]
	v_add_f64_e32 v[5:6], v[5:6], v[100:101]
	v_add_f64_e32 v[0:1], v[0:1], v[100:101]
	v_add_f64_e64 v[122:123], v[114:115], -v[116:117]
	s_delay_alu instid0(VALU_DEP_4) | instskip(NEXT) | instid1(VALU_DEP_4)
	v_fma_f64 v[2:3], v[104:105], s[0:1], v[2:3]
	v_add_f64_e32 v[9:10], v[7:8], v[5:6]
	v_add_f64_e64 v[5:6], v[5:6], -v[7:8]
	ds_store_2addr_b64 v4, v[92:93], v[122:123] offset1:7
	v_add_f64_e64 v[92:93], v[0:1], -v[2:3]
	v_add_f64_e32 v[0:1], v[2:3], v[0:1]
	ds_store_2addr_b64 v4, v[92:93], v[9:10] offset0:14 offset1:21
	ds_store_2addr_b64 v4, v[5:6], v[0:1] offset0:28 offset1:35
	v_add_f64_e32 v[0:1], v[116:117], v[114:115]
	v_add_nc_u32_e32 v116, 0x2400, v125
	ds_store_b64 v4, v[0:1] offset:336
	v_mul_u32_u24_e32 v0, 6, v38
	global_wb scope:SCOPE_SE
	s_wait_dscnt 0x0
	s_barrier_signal -1
	s_barrier_wait -1
	global_inv scope:SCOPE_SE
	v_lshlrev_b32_e32 v10, 4, v0
	ds_load_2addr_b64 v[102:105], v189 offset0:174 offset1:223
	s_clause 0x1
	global_load_b128 v[98:101], v10, s[8:9] offset:688
	global_load_b128 v[0:3], v10, s[8:9] offset:672
	scratch_store_b32 off, v10, off offset:436 ; 4-byte Folded Spill
	s_wait_loadcnt_dscnt 0x100
	v_mul_f64_e32 v[4:5], v[102:103], v[100:101]
	v_mul_f64_e32 v[6:7], v[96:97], v[100:101]
	s_delay_alu instid0(VALU_DEP_2) | instskip(SKIP_1) | instid1(VALU_DEP_3)
	v_fma_f64 v[106:107], v[94:95], v[98:99], -v[4:5]
	v_mul_f64_e32 v[4:5], v[104:105], v[100:101]
	v_fma_f64 v[185:186], v[104:105], v[98:99], v[6:7]
	s_delay_alu instid0(VALU_DEP_2) | instskip(SKIP_1) | instid1(VALU_DEP_1)
	v_fma_f64 v[170:171], v[96:97], v[98:99], -v[4:5]
	v_mul_f64_e32 v[4:5], v[94:95], v[100:101]
	v_fma_f64 v[120:121], v[102:103], v[98:99], v[4:5]
	s_clause 0x1
	global_load_b128 v[4:7], v10, s[8:9] offset:720
	global_load_b128 v[100:103], v10, s[8:9] offset:704
	ds_load_2addr_b64 v[96:99], v219 offset0:92 offset1:141
	global_load_b128 v[216:219], v10, s[8:9] offset:736
	s_wait_loadcnt_dscnt 0x200
	v_mul_f64_e32 v[8:9], v[96:97], v[6:7]
	s_delay_alu instid0(VALU_DEP_1) | instskip(SKIP_1) | instid1(VALU_DEP_1)
	v_fma_f64 v[108:109], v[88:89], v[4:5], -v[8:9]
	v_mul_f64_e32 v[8:9], v[98:99], v[6:7]
	v_fma_f64 v[192:193], v[90:91], v[4:5], -v[8:9]
	v_mul_f64_e32 v[8:9], v[88:89], v[6:7]
	v_mul_f64_e32 v[6:7], v[90:91], v[6:7]
	s_delay_alu instid0(VALU_DEP_2) | instskip(NEXT) | instid1(VALU_DEP_2)
	v_fma_f64 v[244:245], v[96:97], v[4:5], v[8:9]
	v_fma_f64 v[196:197], v[98:99], v[4:5], v[6:7]
	global_load_b128 v[4:7], v10, s[8:9] offset:752
	ds_load_2addr_b64 v[96:99], v208 offset0:10 offset1:59
	s_wait_loadcnt_dscnt 0x0
	v_mul_f64_e32 v[8:9], v[96:97], v[6:7]
	s_delay_alu instid0(VALU_DEP_1) | instskip(SKIP_1) | instid1(VALU_DEP_1)
	v_fma_f64 v[132:133], v[84:85], v[4:5], -v[8:9]
	v_mul_f64_e32 v[8:9], v[98:99], v[6:7]
	v_fma_f64 v[183:184], v[86:87], v[4:5], -v[8:9]
	v_mul_f64_e32 v[8:9], v[84:85], v[6:7]
	v_mul_f64_e32 v[6:7], v[86:87], v[6:7]
	s_delay_alu instid0(VALU_DEP_2) | instskip(NEXT) | instid1(VALU_DEP_2)
	v_fma_f64 v[118:119], v[96:97], v[4:5], v[8:9]
	v_fma_f64 v[204:205], v[98:99], v[4:5], v[6:7]
	v_and_b32_e32 v4, 0xff, v188
	ds_load_2addr_b64 v[96:99], v11 offset0:16 offset1:65
	v_mul_lo_u16 v4, 0x4f, v4
	s_delay_alu instid0(VALU_DEP_1) | instskip(NEXT) | instid1(VALU_DEP_1)
	v_lshrrev_b16 v4, 8, v4
	v_sub_nc_u16 v5, v188, v4
	s_delay_alu instid0(VALU_DEP_1) | instskip(NEXT) | instid1(VALU_DEP_1)
	v_lshrrev_b16 v5, 1, v5
	v_and_b32_e32 v5, 0x7f, v5
	s_delay_alu instid0(VALU_DEP_1) | instskip(NEXT) | instid1(VALU_DEP_1)
	v_add_nc_u16 v4, v5, v4
	v_lshrrev_b16 v4, 5, v4
	s_delay_alu instid0(VALU_DEP_1) | instskip(NEXT) | instid1(VALU_DEP_1)
	v_mul_lo_u16 v4, v4, 49
	v_sub_nc_u16 v4, v188, v4
	s_delay_alu instid0(VALU_DEP_1) | instskip(NEXT) | instid1(VALU_DEP_1)
	v_and_b32_e32 v86, 0xff, v4
	v_mul_u32_u24_e32 v4, 6, v86
	s_delay_alu instid0(VALU_DEP_1)
	v_lshlrev_b32_e32 v87, 4, v4
	s_clause 0x1
	global_load_b128 v[4:7], v87, s[8:9] offset:688
	global_load_b128 v[8:11], v87, s[8:9] offset:672
	s_wait_loadcnt_dscnt 0x100
	v_mul_f64_e32 v[104:105], v[96:97], v[6:7]
	v_mul_f64_e32 v[6:7], v[80:81], v[6:7]
	s_delay_alu instid0(VALU_DEP_2) | instskip(NEXT) | instid1(VALU_DEP_2)
	v_fma_f64 v[248:249], v[80:81], v[4:5], -v[104:105]
	v_fma_f64 v[206:207], v[96:97], v[4:5], v[6:7]
	v_and_b32_e32 v4, 0xff, v39
	s_delay_alu instid0(VALU_DEP_1) | instskip(NEXT) | instid1(VALU_DEP_1)
	v_mul_lo_u16 v4, 0x4f, v4
	v_lshrrev_b16 v4, 8, v4
	s_delay_alu instid0(VALU_DEP_1) | instskip(NEXT) | instid1(VALU_DEP_1)
	v_sub_nc_u16 v5, v39, v4
	v_lshrrev_b16 v5, 1, v5
	s_delay_alu instid0(VALU_DEP_1) | instskip(NEXT) | instid1(VALU_DEP_1)
	v_and_b32_e32 v5, 0x7f, v5
	v_add_nc_u16 v4, v5, v4
	s_delay_alu instid0(VALU_DEP_1) | instskip(NEXT) | instid1(VALU_DEP_1)
	v_lshrrev_b16 v4, 5, v4
	v_mul_lo_u16 v4, v4, 49
	s_delay_alu instid0(VALU_DEP_1) | instskip(NEXT) | instid1(VALU_DEP_1)
	v_sub_nc_u16 v4, v39, v4
	v_and_b32_e32 v80, 0xff, v4
	s_delay_alu instid0(VALU_DEP_1) | instskip(NEXT) | instid1(VALU_DEP_1)
	v_mul_u32_u24_e32 v4, 6, v80
	v_lshlrev_b32_e32 v104, 4, v4
	s_clause 0x2
	global_load_b128 v[4:7], v104, s[8:9] offset:688
	global_load_b128 v[140:143], v104, s[8:9] offset:672
	;; [unrolled: 1-line block ×3, first 2 shown]
	s_wait_loadcnt 0x2
	v_mul_f64_e32 v[96:97], v[98:99], v[6:7]
	v_mul_f64_e32 v[6:7], v[82:83], v[6:7]
	s_delay_alu instid0(VALU_DEP_2) | instskip(NEXT) | instid1(VALU_DEP_2)
	v_fma_f64 v[94:95], v[82:83], v[4:5], -v[96:97]
	v_fma_f64 v[224:225], v[98:99], v[4:5], v[6:7]
	global_load_b128 v[4:7], v87, s[8:9] offset:720
	ds_load_2addr_b64 v[96:99], v21 offset0:190 offset1:239
	s_wait_loadcnt_dscnt 0x0
	v_mul_f64_e32 v[81:82], v[96:97], v[6:7]
	v_mul_f64_e32 v[6:7], v[76:77], v[6:7]
	s_delay_alu instid0(VALU_DEP_2) | instskip(NEXT) | instid1(VALU_DEP_2)
	v_fma_f64 v[168:169], v[76:77], v[4:5], -v[81:82]
	v_fma_f64 v[194:195], v[96:97], v[4:5], v[6:7]
	s_clause 0x1
	global_load_b128 v[4:7], v104, s[8:9] offset:720
	global_load_b128 v[146:149], v104, s[8:9] offset:704
	s_wait_loadcnt 0x1
	v_mul_f64_e32 v[76:77], v[98:99], v[6:7]
	v_mul_f64_e32 v[6:7], v[78:79], v[6:7]
	s_delay_alu instid0(VALU_DEP_2) | instskip(NEXT) | instid1(VALU_DEP_2)
	v_fma_f64 v[166:167], v[78:79], v[4:5], -v[76:77]
	v_fma_f64 v[232:233], v[98:99], v[4:5], v[6:7]
	s_clause 0x1
	global_load_b128 v[4:7], v87, s[8:9] offset:752
	global_load_b128 v[76:79], v87, s[8:9] offset:736
	ds_load_2addr_b64 v[96:99], v208 offset0:108 offset1:157
	s_wait_loadcnt_dscnt 0x100
	v_mul_f64_e32 v[81:82], v[96:97], v[6:7]
	v_mul_f64_e32 v[6:7], v[72:73], v[6:7]
	s_delay_alu instid0(VALU_DEP_2) | instskip(NEXT) | instid1(VALU_DEP_2)
	v_fma_f64 v[214:215], v[72:73], v[4:5], -v[81:82]
	v_fma_f64 v[83:84], v[96:97], v[4:5], v[6:7]
	s_clause 0x1
	global_load_b128 v[4:7], v104, s[8:9] offset:752
	global_load_b128 v[156:159], v104, s[8:9] offset:736
	v_mov_b32_e32 v82, v36
	s_wait_loadcnt 0x1
	v_mul_f64_e32 v[72:73], v[98:99], v[6:7]
	v_mul_f64_e32 v[6:7], v[74:75], v[6:7]
	s_delay_alu instid0(VALU_DEP_2) | instskip(NEXT) | instid1(VALU_DEP_2)
	v_fma_f64 v[226:227], v[74:75], v[4:5], -v[72:73]
	v_fma_f64 v[176:177], v[98:99], v[4:5], v[6:7]
	ds_load_2addr_b64 v[4:7], v36 offset0:106 offset1:155
	s_wait_dscnt 0x0
	v_mul_f64_e32 v[72:73], v[4:5], v[142:143]
	s_delay_alu instid0(VALU_DEP_1) | instskip(SKIP_2) | instid1(VALU_DEP_2)
	v_fma_f64 v[181:182], v[68:69], v[140:141], -v[72:73]
	v_mul_f64_e32 v[68:69], v[68:69], v[142:143]
	v_mov_b32_e32 v142, v20
	v_fma_f64 v[122:123], v[4:5], v[140:141], v[68:69]
	v_and_b32_e32 v4, 0xff, v124
	s_delay_alu instid0(VALU_DEP_1) | instskip(NEXT) | instid1(VALU_DEP_1)
	v_mul_lo_u16 v4, 0x4f, v4
	v_lshrrev_b16 v4, 8, v4
	s_delay_alu instid0(VALU_DEP_1) | instskip(NEXT) | instid1(VALU_DEP_1)
	v_sub_nc_u16 v5, v124, v4
	v_lshrrev_b16 v5, 1, v5
	s_delay_alu instid0(VALU_DEP_1) | instskip(NEXT) | instid1(VALU_DEP_1)
	v_and_b32_e32 v5, 0x7f, v5
	v_add_nc_u16 v4, v5, v4
	s_delay_alu instid0(VALU_DEP_1) | instskip(NEXT) | instid1(VALU_DEP_1)
	v_lshrrev_b16 v4, 5, v4
	v_mul_lo_u16 v4, v4, 49
	s_delay_alu instid0(VALU_DEP_1) | instskip(NEXT) | instid1(VALU_DEP_1)
	v_sub_nc_u16 v4, v124, v4
	v_and_b32_e32 v68, 0xff, v4
	s_delay_alu instid0(VALU_DEP_1) | instskip(NEXT) | instid1(VALU_DEP_1)
	v_mul_u32_u24_e32 v4, 6, v68
	v_lshlrev_b32_e32 v81, 4, v4
	s_clause 0x1
	global_load_b128 v[72:75], v81, s[8:9] offset:672
	global_load_b128 v[96:99], v81, s[8:9] offset:688
	s_wait_loadcnt 0x1
	v_mul_f64_e32 v[4:5], v[6:7], v[74:75]
	s_delay_alu instid0(VALU_DEP_1) | instskip(SKIP_2) | instid1(VALU_DEP_2)
	v_fma_f64 v[198:199], v[70:71], v[72:73], -v[4:5]
	v_mul_f64_e32 v[4:5], v[70:71], v[74:75]
	v_mov_b32_e32 v75, v37
	v_fma_f64 v[240:241], v[6:7], v[72:73], v[4:5]
	ds_load_2addr_b64 v[4:7], v20 offset0:152 offset1:201
	v_add_nc_u32_e32 v74, 0x3000, v125
	s_wait_dscnt 0x0
	v_mul_f64_e32 v[69:70], v[4:5], v[148:149]
	s_delay_alu instid0(VALU_DEP_1)
	v_fma_f64 v[114:115], v[64:65], v[146:147], -v[69:70]
	v_mul_f64_e32 v[64:65], v[64:65], v[148:149]
	s_clause 0x1
	global_load_b128 v[69:72], v81, s[8:9] offset:704
	global_load_b128 v[148:151], v81, s[8:9] offset:720
	v_add_nc_u32_e32 v73, 0x1c00, v125
	v_fma_f64 v[136:137], v[4:5], v[146:147], v[64:65]
	v_add_nc_u32_e32 v209, 0x800, v125
	s_wait_loadcnt 0x1
	v_mul_f64_e32 v[4:5], v[6:7], v[71:72]
	s_delay_alu instid0(VALU_DEP_1)
	v_fma_f64 v[222:223], v[66:67], v[69:70], -v[4:5]
	v_mul_f64_e32 v[4:5], v[66:67], v[71:72]
	ds_load_2addr_b64 v[64:67], v37 offset0:70 offset1:119
	v_mov_b32_e32 v164, v222
	v_fma_f64 v[4:5], v[6:7], v[69:70], v[4:5]
	v_mov_b32_e32 v165, v223
	scratch_store_b64 off, v[4:5], off offset:132 ; 8-byte Folded Spill
	s_clause 0x1
	global_load_b128 v[69:72], v81, s[8:9] offset:736
	global_load_b128 v[160:163], v81, s[8:9] offset:752
	scratch_load_b32 v6, off, off offset:68 th:TH_LOAD_LU ; 4-byte Folded Reload
	s_wait_dscnt 0x0
	v_mul_f64_e32 v[4:5], v[64:65], v[158:159]
	s_delay_alu instid0(VALU_DEP_1) | instskip(SKIP_2) | instid1(VALU_DEP_3)
	v_fma_f64 v[90:91], v[60:61], v[156:157], -v[4:5]
	v_mul_f64_e32 v[4:5], v[60:61], v[158:159]
	v_dual_mov_b32 v159, v115 :: v_dual_mov_b32 v158, v114
	v_mov_b32_e32 v92, v91
	s_delay_alu instid0(VALU_DEP_3) | instskip(SKIP_3) | instid1(VALU_DEP_1)
	v_fma_f64 v[87:88], v[64:65], v[156:157], v[4:5]
	v_mov_b32_e32 v91, v90
	s_wait_loadcnt 0x2
	v_mul_f64_e32 v[4:5], v[66:67], v[71:72]
	v_fma_f64 v[144:145], v[62:63], v[69:70], -v[4:5]
	v_mul_f64_e32 v[4:5], v[62:63], v[71:72]
	ds_load_2addr_b64 v[60:63], v22 offset0:114 offset1:163
	v_fma_f64 v[174:175], v[66:67], v[69:70], v[4:5]
	s_wait_dscnt 0x0
	v_mul_f64_e32 v[4:5], v[60:61], v[98:99]
	s_delay_alu instid0(VALU_DEP_2) | instskip(NEXT) | instid1(VALU_DEP_2)
	v_mov_b32_e32 v114, v174
	v_fma_f64 v[152:153], v[56:57], v[96:97], -v[4:5]
	v_mul_f64_e32 v[4:5], v[56:57], v[98:99]
	v_mov_b32_e32 v115, v175
	s_delay_alu instid0(VALU_DEP_2) | instskip(SKIP_2) | instid1(VALU_DEP_1)
	v_fma_f64 v[130:131], v[60:61], v[96:97], v[4:5]
	s_wait_loadcnt 0x0
	v_and_b32_e32 v4, 0xffff, v6
	v_mul_u32_u24_e32 v4, 0x4e5f, v4
	s_delay_alu instid0(VALU_DEP_1) | instskip(NEXT) | instid1(VALU_DEP_1)
	v_lshrrev_b32_e32 v4, 16, v4
	v_sub_nc_u16 v5, v6, v4
	s_delay_alu instid0(VALU_DEP_1) | instskip(NEXT) | instid1(VALU_DEP_1)
	v_lshrrev_b16 v5, 1, v5
	v_add_nc_u16 v4, v5, v4
	s_delay_alu instid0(VALU_DEP_1) | instskip(NEXT) | instid1(VALU_DEP_1)
	v_lshrrev_b16 v4, 5, v4
	v_mul_lo_u16 v4, v4, 49
	s_delay_alu instid0(VALU_DEP_1) | instskip(NEXT) | instid1(VALU_DEP_1)
	v_sub_nc_u16 v4, v6, v4
	v_and_b32_e32 v56, 0xffff, v4
	s_delay_alu instid0(VALU_DEP_1) | instskip(NEXT) | instid1(VALU_DEP_1)
	v_mul_u32_u24_e32 v4, 6, v56
	v_lshlrev_b32_e32 v6, 4, v4
	s_clause 0x1
	global_load_b128 v[64:67], v6, s[8:9] offset:688
	global_load_b128 v[69:72], v6, s[8:9] offset:672
	s_wait_loadcnt 0x1
	v_mul_f64_e32 v[4:5], v[62:63], v[66:67]
	s_delay_alu instid0(VALU_DEP_1)
	v_fma_f64 v[4:5], v[58:59], v[64:65], -v[4:5]
	scratch_store_b64 off, v[4:5], off offset:116 ; 8-byte Folded Spill
	v_mul_f64_e32 v[4:5], v[58:59], v[66:67]
	ds_load_2addr_b64 v[57:60], v74 offset0:32 offset1:81
	v_fma_f64 v[4:5], v[62:63], v[64:65], v[4:5]
	scratch_store_b64 off, v[4:5], off offset:68 ; 8-byte Folded Spill
	s_clause 0x1
	global_load_b128 v[61:64], v6, s[8:9] offset:720
	global_load_b128 v[96:99], v6, s[8:9] offset:704
	s_wait_dscnt 0x0
	v_mul_f64_e32 v[4:5], v[57:58], v[150:151]
	s_delay_alu instid0(VALU_DEP_1) | instskip(SKIP_1) | instid1(VALU_DEP_2)
	v_fma_f64 v[126:127], v[52:53], v[148:149], -v[4:5]
	v_mul_f64_e32 v[4:5], v[52:53], v[150:151]
	v_mov_b32_e32 v89, v126
	s_delay_alu instid0(VALU_DEP_2) | instskip(SKIP_2) | instid1(VALU_DEP_1)
	v_fma_f64 v[187:188], v[57:58], v[148:149], v[4:5]
	s_wait_loadcnt 0x1
	v_mul_f64_e32 v[4:5], v[59:60], v[63:64]
	v_fma_f64 v[228:229], v[54:55], v[61:62], -v[4:5]
	v_mul_f64_e32 v[4:5], v[54:55], v[63:64]
	ds_load_2addr_b64 v[52:55], v208 offset0:206 offset1:255
	v_fma_f64 v[4:5], v[59:60], v[61:62], v[4:5]
	scratch_store_b64 off, v[4:5], off offset:124 ; 8-byte Folded Spill
	s_clause 0x1
	global_load_b128 v[57:60], v6, s[8:9] offset:752
	global_load_b128 v[61:64], v6, s[8:9] offset:736
	s_wait_dscnt 0x0
	v_mul_f64_e32 v[4:5], v[52:53], v[162:163]
	scratch_store_b32 off, v129, off offset:388 ; 4-byte Folded Spill
	v_fma_f64 v[179:180], v[48:49], v[160:161], -v[4:5]
	v_mul_f64_e32 v[4:5], v[48:49], v[162:163]
	v_dual_mov_b32 v162, v214 :: v_dual_mov_b32 v163, v215
	v_dual_mov_b32 v215, v195 :: v_dual_mov_b32 v214, v194
	;; [unrolled: 1-line block ×4, first 2 shown]
	v_fma_f64 v[65:66], v[52:53], v[160:161], v[4:5]
	s_delay_alu instid0(VALU_DEP_1) | instskip(SKIP_2) | instid1(VALU_DEP_1)
	v_dual_mov_b32 v175, v66 :: v_dual_mov_b32 v174, v65
	s_wait_loadcnt 0x1
	v_mul_f64_e32 v[4:5], v[54:55], v[59:60]
	v_fma_f64 v[6:7], v[50:51], v[57:58], -v[4:5]
	v_mul_f64_e32 v[4:5], v[50:51], v[59:60]
	ds_load_2addr_b64 v[48:51], v189 offset0:76 offset1:125
	v_fma_f64 v[4:5], v[54:55], v[57:58], v[4:5]
	scratch_store_b64 off, v[4:5], off offset:148 ; 8-byte Folded Spill
	s_wait_dscnt 0x0
	v_mul_f64_e32 v[4:5], v[48:49], v[71:72]
	s_delay_alu instid0(VALU_DEP_1) | instskip(SKIP_1) | instid1(VALU_DEP_1)
	v_fma_f64 v[236:237], v[44:45], v[69:70], -v[4:5]
	v_mul_f64_e32 v[4:5], v[44:45], v[71:72]
	v_fma_f64 v[220:221], v[48:49], v[69:70], v[4:5]
	v_and_b32_e32 v4, 0xffff, v129
	s_delay_alu instid0(VALU_DEP_1) | instskip(NEXT) | instid1(VALU_DEP_1)
	v_mul_u32_u24_e32 v4, 0x4e5f, v4
	v_lshrrev_b32_e32 v4, 16, v4
	s_delay_alu instid0(VALU_DEP_1) | instskip(NEXT) | instid1(VALU_DEP_1)
	v_sub_nc_u16 v5, v129, v4
	v_lshrrev_b16 v5, 1, v5
	s_delay_alu instid0(VALU_DEP_1) | instskip(NEXT) | instid1(VALU_DEP_1)
	v_add_nc_u16 v4, v5, v4
	v_lshrrev_b16 v4, 5, v4
	s_delay_alu instid0(VALU_DEP_1) | instskip(NEXT) | instid1(VALU_DEP_1)
	v_mul_lo_u16 v4, v4, 49
	v_sub_nc_u16 v4, v129, v4
	v_lshl_add_u32 v129, v68, 3, 0
	s_delay_alu instid0(VALU_DEP_2) | instskip(NEXT) | instid1(VALU_DEP_2)
	v_and_b32_e32 v178, 0xffff, v4
	v_add_nc_u32_e32 v93, 0x3000, v129
	s_delay_alu instid0(VALU_DEP_2) | instskip(NEXT) | instid1(VALU_DEP_1)
	v_mul_u32_u24_e32 v4, 6, v178
	v_lshlrev_b32_e32 v53, 4, v4
	s_clause 0x1
	global_load_b128 v[57:60], v53, s[8:9] offset:672
	global_load_b128 v[69:72], v53, s[8:9] offset:688
	s_wait_loadcnt 0x1
	v_mul_f64_e32 v[4:5], v[50:51], v[59:60]
	s_delay_alu instid0(VALU_DEP_1)
	v_fma_f64 v[4:5], v[46:47], v[57:58], -v[4:5]
	scratch_store_b64 off, v[4:5], off offset:108 ; 8-byte Folded Spill
	v_mul_f64_e32 v[4:5], v[46:47], v[59:60]
	ds_load_2addr_b64 v[44:47], v20 offset0:54 offset1:103
	v_fma_f64 v[4:5], v[50:51], v[57:58], v[4:5]
	scratch_store_b64 off, v[4:5], off      ; 8-byte Folded Spill
	s_wait_dscnt 0x0
	v_mul_f64_e32 v[4:5], v[46:47], v[212:213]
	s_delay_alu instid0(VALU_DEP_1) | instskip(SKIP_1) | instid1(VALU_DEP_1)
	v_fma_f64 v[54:55], v[42:43], v[210:211], -v[4:5]
	v_mul_f64_e32 v[4:5], v[42:43], v[212:213]
	v_fma_f64 v[242:243], v[46:47], v[210:211], v[4:5]
	v_mul_f64_e32 v[4:5], v[44:45], v[102:103]
	v_dual_mov_b32 v210, v228 :: v_dual_mov_b32 v211, v229
	s_delay_alu instid0(VALU_DEP_2) | instskip(SKIP_1) | instid1(VALU_DEP_1)
	v_fma_f64 v[148:149], v[40:41], v[100:101], -v[4:5]
	v_mul_f64_e32 v[4:5], v[40:41], v[102:103]
	v_fma_f64 v[156:157], v[44:45], v[100:101], v[4:5]
	ds_load_2addr_b64 v[42:45], v73 offset0:84 offset1:133
	s_wait_dscnt 0x0
	v_mul_f64_e32 v[4:5], v[44:45], v[102:103]
	s_delay_alu instid0(VALU_DEP_1) | instskip(SKIP_1) | instid1(VALU_DEP_1)
	v_fma_f64 v[134:135], v[34:35], v[100:101], -v[4:5]
	v_mul_f64_e32 v[4:5], v[34:35], v[102:103]
	v_fma_f64 v[40:41], v[44:45], v[100:101], v[4:5]
	s_wait_loadcnt 0x0
	v_mul_f64_e32 v[4:5], v[42:43], v[71:72]
	s_delay_alu instid0(VALU_DEP_1) | instskip(SKIP_2) | instid1(VALU_DEP_2)
	v_fma_f64 v[230:231], v[32:33], v[69:70], -v[4:5]
	v_mul_f64_e32 v[4:5], v[32:33], v[71:72]
	v_dual_mov_b32 v72, v82 :: v_dual_add_nc_u32 v71, 0x3400, v125
	v_fma_f64 v[4:5], v[42:43], v[69:70], v[4:5]
	scratch_store_b64 off, v[54:55], off offset:156 ; 8-byte Folded Spill
	ds_load_2addr_b64 v[42:45], v116 offset0:122 offset1:171
	scratch_store_b64 off, v[4:5], off offset:140 ; 8-byte Folded Spill
	s_clause 0x1
	global_load_b128 v[46:49], v53, s[8:9] offset:704
	global_load_b128 v[57:60], v53, s[8:9] offset:720
	s_wait_dscnt 0x0
	v_mul_f64_e32 v[4:5], v[42:43], v[98:99]
	ds_load_2addr_b64 v[36:39], v71 offset0:100 offset1:149
	v_fma_f64 v[172:173], v[12:13], v[96:97], -v[4:5]
	v_mul_f64_e32 v[4:5], v[12:13], v[98:99]
	s_delay_alu instid0(VALU_DEP_1) | instskip(SKIP_2) | instid1(VALU_DEP_1)
	v_fma_f64 v[212:213], v[42:43], v[96:97], v[4:5]
	s_wait_loadcnt 0x1
	v_mul_f64_e32 v[4:5], v[44:45], v[48:49]
	v_fma_f64 v[146:147], v[14:15], v[46:47], -v[4:5]
	v_mul_f64_e32 v[4:5], v[14:15], v[48:49]
	s_delay_alu instid0(VALU_DEP_1) | instskip(SKIP_2) | instid1(VALU_DEP_1)
	v_fma_f64 v[150:151], v[44:45], v[46:47], v[4:5]
	s_wait_dscnt 0x0
	v_mul_f64_e32 v[4:5], v[38:39], v[78:79]
	v_fma_f64 v[246:247], v[30:31], v[76:77], -v[4:5]
	v_mul_f64_e32 v[4:5], v[30:31], v[78:79]
	ds_load_2addr_b64 v[30:33], v74 offset0:130 offset1:179
	v_mov_b32_e32 v79, v74
	v_fma_f64 v[238:239], v[38:39], v[76:77], v[4:5]
	v_mul_f64_e32 v[4:5], v[36:37], v[218:219]
	v_mov_b32_e32 v76, v75
	s_delay_alu instid0(VALU_DEP_2) | instskip(SKIP_1) | instid1(VALU_DEP_1)
	v_fma_f64 v[100:101], v[28:29], v[216:217], -v[4:5]
	v_mul_f64_e32 v[4:5], v[28:29], v[218:219]
	v_fma_f64 v[154:155], v[36:37], v[216:217], v[4:5]
	s_wait_dscnt 0x0
	v_mul_f64_e32 v[4:5], v[32:33], v[218:219]
	s_delay_alu instid0(VALU_DEP_1) | instskip(SKIP_1) | instid1(VALU_DEP_1)
	v_fma_f64 v[28:29], v[18:19], v[216:217], -v[4:5]
	v_mul_f64_e32 v[4:5], v[18:19], v[218:219]
	v_fma_f64 v[22:23], v[32:33], v[216:217], v[4:5]
	s_wait_loadcnt 0x0
	v_mul_f64_e32 v[4:5], v[30:31], v[59:60]
	s_delay_alu instid0(VALU_DEP_1) | instskip(SKIP_1) | instid1(VALU_DEP_1)
	v_fma_f64 v[138:139], v[16:17], v[57:58], -v[4:5]
	v_mul_f64_e32 v[4:5], v[16:17], v[59:60]
	v_fma_f64 v[190:191], v[30:31], v[57:58], v[4:5]
	ds_load_2addr_b64 v[30:33], v75 offset0:168 offset1:217
	s_clause 0x1
	global_load_b128 v[36:39], v53, s[8:9] offset:736
	global_load_b128 v[42:45], v53, s[8:9] offset:752
	s_clause 0x1
	scratch_load_b64 v[12:13], off, off offset:92 th:TH_LOAD_LU
	scratch_load_b128 v[250:253], off, off offset:76 th:TH_LOAD_LU
	ds_load_2addr_b64 v[96:99], v209 offset0:38 offset1:87
	s_wait_dscnt 0x1
	v_mul_f64_e32 v[4:5], v[30:31], v[63:64]
	s_delay_alu instid0(VALU_DEP_1) | instskip(SKIP_1) | instid1(VALU_DEP_1)
	v_fma_f64 v[74:75], v[24:25], v[61:62], -v[4:5]
	v_mul_f64_e32 v[4:5], v[24:25], v[63:64]
	v_fma_f64 v[63:64], v[30:31], v[61:62], v[4:5]
	s_delay_alu instid0(VALU_DEP_1) | instskip(SKIP_2) | instid1(VALU_DEP_1)
	v_dual_mov_b32 v225, v64 :: v_dual_mov_b32 v224, v63
	s_wait_loadcnt 0x3
	v_mul_f64_e32 v[4:5], v[32:33], v[38:39]
	v_fma_f64 v[69:70], v[26:27], v[36:37], -v[4:5]
	v_mul_f64_e32 v[4:5], v[26:27], v[38:39]
	ds_load_2addr_b64 v[24:27], v209 offset0:136 offset1:185
	v_fma_f64 v[160:161], v[32:33], v[36:37], v[4:5]
	ds_load_b64 v[4:5], v125 offset:18816
	v_add_f64_e64 v[32:33], v[120:121], -v[22:23]
	v_add_f64_e32 v[120:121], v[120:121], v[22:23]
	v_add_f64_e32 v[22:23], v[40:41], v[244:245]
	s_wait_loadcnt_dscnt 0x200
	v_mul_f64_e32 v[20:21], v[4:5], v[44:45]
	s_wait_loadcnt 0x1
	s_delay_alu instid0(VALU_DEP_1)
	v_fma_f64 v[77:78], v[12:13], v[42:43], -v[20:21]
	v_mul_f64_e32 v[20:21], v[12:13], v[44:45]
	scratch_load_b128 v[12:15], off, off offset:52 th:TH_LOAD_LU ; 16-byte Folded Reload
	v_mov_b32_e32 v90, v127
	v_fma_f64 v[34:35], v[4:5], v[42:43], v[20:21]
	v_mul_f64_e32 v[4:5], v[26:27], v[10:11]
	s_delay_alu instid0(VALU_DEP_1) | instskip(SKIP_2) | instid1(VALU_DEP_2)
	v_fma_f64 v[254:255], v[112:113], v[8:9], -v[4:5]
	v_mul_f64_e32 v[4:5], v[112:113], v[10:11]
	v_dual_mov_b32 v113, v109 :: v_dual_mov_b32 v112, v108
	v_fma_f64 v[234:235], v[26:27], v[8:9], v[4:5]
	v_mul_f64_e32 v[8:9], v[110:111], v[2:3]
	v_mul_f64_e32 v[4:5], v[24:25], v[2:3]
	s_delay_alu instid0(VALU_DEP_2)
	v_fma_f64 v[16:17], v[24:25], v[0:1], v[8:9]
	v_mul_f64_e32 v[8:9], v[98:99], v[2:3]
	s_wait_loadcnt 0x1
	v_mul_f64_e32 v[2:3], v[252:253], v[2:3]
	v_add_f64_e32 v[24:25], v[106:107], v[28:29]
	v_fma_f64 v[4:5], v[110:111], v[0:1], -v[4:5]
	v_dual_mov_b32 v111, v107 :: v_dual_mov_b32 v110, v106
	v_fma_f64 v[18:19], v[252:253], v[0:1], -v[8:9]
	v_fma_f64 v[2:3], v[98:99], v[0:1], v[2:3]
	v_add_f64_e32 v[0:1], v[134:135], v[108:109]
	ds_load_2addr_b64 v[106:109], v125 offset1:49
	ds_load_2addr_b64 v[102:105], v125 offset0:98 offset1:147
	ds_load_2addr_b64 v[216:219], v125 offset0:196 offset1:245
	global_wb scope:SCOPE_SE
	s_wait_storecnt 0x0
	s_wait_loadcnt_dscnt 0x0
	s_barrier_signal -1
	s_barrier_wait -1
	global_inv scope:SCOPE_SE
	v_dual_mov_b32 v98, v226 :: v_dual_mov_b32 v99, v227
	v_dual_mov_b32 v226, v232 :: v_dual_mov_b32 v227, v233
	v_lshl_add_u32 v117, v86, 3, 0
	s_clause 0x4
	scratch_load_b64 v[228:229], off, off offset:68 th:TH_LOAD_LU
	scratch_load_b64 v[252:253], off, off offset:132 th:TH_LOAD_LU
	;; [unrolled: 1-line block ×3, first 2 shown]
	scratch_load_b128 v[59:62], off, off offset:20 th:TH_LOAD_LU
	scratch_load_b64 v[126:127], off, off th:TH_LOAD_LU
	v_add_nc_u32_e32 v52, 0x1000, v117
	v_add_nc_u32_e32 v143, 0x1800, v117
	v_mov_b32_e32 v85, v179
	v_dual_mov_b32 v233, v145 :: v_dual_mov_b32 v86, v180
	v_dual_mov_b32 v232, v144 :: v_dual_mov_b32 v179, v187
	;; [unrolled: 1-line block ×4, first 2 shown]
	v_mov_b32_e32 v240, v74
	scratch_load_b64 v[144:145], off, off offset:148 th:TH_LOAD_LU ; 8-byte Folded Reload
	v_add_f64_e32 v[20:21], v[18:19], v[132:133]
	v_add_f64_e64 v[38:39], v[2:3], -v[118:119]
	v_add_f64_e64 v[26:27], v[0:1], -v[24:25]
	v_add_f64_e32 v[118:119], v[2:3], v[118:119]
	v_add_f64_e64 v[18:19], v[18:19], -v[132:133]
	v_add_f64_e64 v[132:133], v[110:111], -v[28:29]
	;; [unrolled: 1-line block ×4, first 2 shown]
	v_add_f64_e32 v[8:9], v[24:25], v[20:21]
	v_add_f64_e64 v[10:11], v[20:21], -v[0:1]
	s_delay_alu instid0(VALU_DEP_2) | instskip(SKIP_1) | instid1(VALU_DEP_3)
	v_add_f64_e32 v[8:9], v[0:1], v[8:9]
	v_add_f64_e64 v[0:1], v[244:245], -v[40:41]
	v_mul_f64_e32 v[42:43], s[16:17], v[10:11]
	v_mul_f64_e32 v[10:11], s[22:23], v[26:27]
	s_delay_alu instid0(VALU_DEP_4) | instskip(NEXT) | instid1(VALU_DEP_4)
	v_add_f64_e32 v[48:49], v[12:13], v[8:9]
	v_add_f64_e64 v[44:45], v[0:1], -v[32:33]
	v_add_f64_e32 v[30:31], v[0:1], v[32:33]
	v_add_f64_e64 v[36:37], v[38:39], -v[0:1]
	v_fma_f64 v[0:1], v[26:27], s[22:23], v[42:43]
	v_add_f64_e64 v[26:27], v[196:197], -v[156:157]
	v_fma_f64 v[12:13], v[8:9], s[18:19], v[48:49]
	v_mul_f64_e32 v[44:45], s[20:21], v[44:45]
	v_add_f64_e32 v[30:31], v[30:31], v[38:39]
	v_add_f64_e64 v[8:9], v[32:33], -v[38:39]
	s_delay_alu instid0(VALU_DEP_4) | instskip(NEXT) | instid1(VALU_DEP_4)
	v_add_f64_e32 v[46:47], v[0:1], v[12:13]
	v_fma_f64 v[0:1], v[36:37], s[4:5], v[44:45]
	s_delay_alu instid0(VALU_DEP_1) | instskip(NEXT) | instid1(VALU_DEP_1)
	v_fma_f64 v[50:51], v[30:31], s[0:1], v[0:1]
	v_add_f64_e32 v[0:1], v[50:51], v[46:47]
	ds_store_2addr_b64 v125, v[48:49], v[0:1] offset1:49
	v_add_f64_e64 v[0:1], v[24:25], -v[20:21]
	v_mul_f64_e32 v[20:21], s[2:3], v[8:9]
	v_fma_f64 v[8:9], v[8:9], s[2:3], -v[44:45]
	s_delay_alu instid0(VALU_DEP_3) | instskip(SKIP_1) | instid1(VALU_DEP_4)
	v_fma_f64 v[10:11], v[0:1], s[12:13], -v[10:11]
	v_fma_f64 v[0:1], v[0:1], s[14:15], -v[42:43]
	;; [unrolled: 1-line block ×3, first 2 shown]
	s_delay_alu instid0(VALU_DEP_4) | instskip(NEXT) | instid1(VALU_DEP_4)
	v_fma_f64 v[8:9], v[30:31], s[0:1], v[8:9]
	v_add_f64_e32 v[10:11], v[10:11], v[12:13]
	s_delay_alu instid0(VALU_DEP_4) | instskip(NEXT) | instid1(VALU_DEP_4)
	v_add_f64_e32 v[0:1], v[0:1], v[12:13]
	v_fma_f64 v[12:13], v[30:31], s[0:1], v[20:21]
	v_add_f64_e64 v[30:31], v[16:17], -v[204:205]
	s_delay_alu instid0(VALU_DEP_4) | instskip(SKIP_1) | instid1(VALU_DEP_4)
	v_add_f64_e64 v[24:25], v[10:11], -v[8:9]
	v_add_f64_e32 v[8:9], v[8:9], v[10:11]
	v_add_f64_e32 v[20:21], v[12:13], v[0:1]
	v_add_f64_e64 v[0:1], v[0:1], -v[12:13]
	v_add_f64_e32 v[10:11], v[170:171], v[100:101]
	v_add_f64_e32 v[12:13], v[148:149], v[192:193]
	ds_store_2addr_b64 v125, v[20:21], v[24:25] offset0:98 offset1:147
	ds_store_2addr_b64 v125, v[8:9], v[0:1] offset0:196 offset1:245
	v_add_f64_e32 v[8:9], v[4:5], v[183:184]
	v_add_f64_e64 v[0:1], v[46:47], -v[50:51]
	scratch_load_b128 v[46:49], off, off offset:36 th:TH_LOAD_LU ; 16-byte Folded Reload
	v_add_f64_e64 v[4:5], v[4:5], -v[183:184]
	v_add_f64_e32 v[20:21], v[10:11], v[8:9]
	v_add_f64_e64 v[24:25], v[10:11], -v[8:9]
	v_add_f64_e64 v[8:9], v[8:9], -v[12:13]
	;; [unrolled: 1-line block ×3, first 2 shown]
	s_delay_alu instid0(VALU_DEP_4) | instskip(NEXT) | instid1(VALU_DEP_3)
	v_add_f64_e32 v[20:21], v[12:13], v[20:21]
	v_mul_f64_e32 v[8:9], s[16:17], v[8:9]
	s_delay_alu instid0(VALU_DEP_2)
	v_add_f64_e32 v[12:13], v[14:15], v[20:21]
	v_add_f64_e64 v[14:15], v[185:186], -v[154:155]
	ds_store_2addr_b64 v209, v[0:1], v[12:13] offset0:38 offset1:87
	v_add_f64_e32 v[32:33], v[26:27], v[14:15]
	v_add_f64_e64 v[36:37], v[26:27], -v[14:15]
	v_add_f64_e64 v[14:15], v[14:15], -v[30:31]
	;; [unrolled: 1-line block ×3, first 2 shown]
	v_fma_f64 v[0:1], v[20:21], s[18:19], v[12:13]
	v_fma_f64 v[20:21], v[10:11], s[22:23], v[8:9]
	v_mul_f64_e32 v[10:11], s[22:23], v[10:11]
	v_fma_f64 v[8:9], v[24:25], s[14:15], -v[8:9]
	v_add_f64_e32 v[30:31], v[32:33], v[30:31]
	v_mul_f64_e32 v[12:13], s[20:21], v[36:37]
	v_mul_f64_e32 v[32:33], s[2:3], v[14:15]
	v_add_f64_e32 v[20:21], v[20:21], v[0:1]
	v_fma_f64 v[10:11], v[24:25], s[12:13], -v[10:11]
	v_add_f64_e32 v[8:9], v[8:9], v[0:1]
	v_add_f64_e64 v[24:25], v[214:215], -v[242:243]
	v_fma_f64 v[32:33], v[26:27], s[10:11], -v[32:33]
	v_fma_f64 v[26:27], v[26:27], s[4:5], v[12:13]
	v_fma_f64 v[12:13], v[14:15], s[2:3], -v[12:13]
	v_add_f64_e32 v[0:1], v[10:11], v[0:1]
	s_delay_alu instid0(VALU_DEP_4) | instskip(NEXT) | instid1(VALU_DEP_4)
	v_fma_f64 v[32:33], v[30:31], s[0:1], v[32:33]
	v_fma_f64 v[26:27], v[30:31], s[0:1], v[26:27]
	s_delay_alu instid0(VALU_DEP_4) | instskip(NEXT) | instid1(VALU_DEP_3)
	v_fma_f64 v[10:11], v[30:31], s[0:1], v[12:13]
	v_add_f64_e32 v[38:39], v[32:33], v[8:9]
	s_delay_alu instid0(VALU_DEP_3) | instskip(NEXT) | instid1(VALU_DEP_3)
	v_add_f64_e32 v[36:37], v[26:27], v[20:21]
	v_add_f64_e64 v[12:13], v[0:1], -v[10:11]
	v_add_f64_e32 v[0:1], v[10:11], v[0:1]
	v_add_f64_e32 v[10:11], v[54:55], v[168:169]
	ds_store_2addr_b64 v82, v[12:13], v[0:1] offset0:106 offset1:155
	v_add_f64_e64 v[0:1], v[8:9], -v[32:33]
	v_add_f64_e64 v[8:9], v[20:21], -v[26:27]
	;; [unrolled: 1-line block ×3, first 2 shown]
	v_mov_b32_e32 v81, v136
	v_add_f64_e64 v[26:27], v[234:235], -v[83:84]
	v_mov_b32_e32 v82, v137
	ds_store_2addr_b64 v209, v[36:37], v[38:39] offset0:136 offset1:185
	v_dual_mov_b32 v136, v176 :: v_dual_mov_b32 v137, v177
	v_lshl_add_u32 v124, v80, 3, 0
	scratch_load_b64 v[176:177], off, off offset:108 th:TH_LOAD_LU ; 8-byte Folded Reload
	ds_store_2addr_b64 v189, v[0:1], v[8:9] offset0:76 offset1:125
	v_add_f64_e32 v[0:1], v[254:255], v[162:163]
	v_add_f64_e32 v[8:9], v[248:249], v[246:247]
	v_add_f64_e64 v[32:33], v[24:25], -v[20:21]
	v_add_f64_e32 v[30:31], v[24:25], v[20:21]
	v_add_f64_e64 v[24:25], v[26:27], -v[24:25]
	v_add_f64_e64 v[14:15], v[0:1], -v[10:11]
	v_add_f64_e32 v[12:13], v[8:9], v[0:1]
	v_mul_f64_e32 v[32:33], s[20:21], v[32:33]
	v_add_f64_e32 v[30:31], v[30:31], v[26:27]
	v_add_f64_e64 v[0:1], v[8:9], -v[0:1]
	v_mul_f64_e32 v[14:15], s[16:17], v[14:15]
	v_add_f64_e32 v[12:13], v[10:11], v[12:13]
	v_add_f64_e64 v[10:11], v[10:11], -v[8:9]
	v_add_f64_e64 v[8:9], v[20:21], -v[26:27]
	s_wait_loadcnt 0x1
	s_delay_alu instid0(VALU_DEP_3) | instskip(NEXT) | instid1(VALU_DEP_1)
	v_add_f64_e32 v[36:37], v[46:47], v[12:13]
	v_fma_f64 v[38:39], v[12:13], s[18:19], v[36:37]
	s_delay_alu instid0(VALU_DEP_4) | instskip(SKIP_1) | instid1(VALU_DEP_2)
	v_fma_f64 v[12:13], v[10:11], s[22:23], v[14:15]
	v_mul_f64_e32 v[10:11], s[22:23], v[10:11]
	v_add_f64_e32 v[42:43], v[12:13], v[38:39]
	v_fma_f64 v[12:13], v[24:25], s[4:5], v[32:33]
	s_delay_alu instid0(VALU_DEP_3) | instskip(SKIP_1) | instid1(VALU_DEP_3)
	v_fma_f64 v[10:11], v[0:1], s[12:13], -v[10:11]
	v_fma_f64 v[0:1], v[0:1], s[14:15], -v[14:15]
	v_fma_f64 v[44:45], v[30:31], s[0:1], v[12:13]
	v_mul_f64_e32 v[13:14], s[2:3], v[8:9]
	v_fma_f64 v[8:9], v[8:9], s[2:3], -v[32:33]
	v_add_f64_e32 v[10:11], v[10:11], v[38:39]
	v_add_f64_e32 v[0:1], v[0:1], v[38:39]
	v_add_f64_e64 v[32:33], v[122:123], -v[136:137]
	v_add_f64_e32 v[46:47], v[44:45], v[42:43]
	v_fma_f64 v[13:14], v[24:25], s[10:11], -v[13:14]
	v_fma_f64 v[8:9], v[30:31], s[0:1], v[8:9]
	ds_store_2addr_b64 v52, v[36:37], v[46:47] offset0:174 offset1:223
	v_fma_f64 v[13:14], v[30:31], s[0:1], v[13:14]
	v_add_f64_e64 v[24:25], v[10:11], -v[8:9]
	v_add_f64_e32 v[8:9], v[8:9], v[10:11]
	v_add_f64_e32 v[10:11], v[158:159], v[194:195]
	v_add_f64_e64 v[30:31], v[166:167], -v[87:88]
	v_add_f64_e32 v[20:21], v[13:14], v[0:1]
	v_add_f64_e64 v[0:1], v[0:1], -v[13:14]
	ds_store_2addr_b64 v143, v[20:21], v[24:25] offset0:16 offset1:65
	ds_store_2addr_b64 v143, v[8:9], v[0:1] offset0:114 offset1:163
	v_add_f64_e32 v[0:1], v[181:182], v[98:99]
	v_add_f64_e32 v[8:9], v[94:95], v[91:92]
	s_delay_alu instid0(VALU_DEP_2) | instskip(NEXT) | instid1(VALU_DEP_2)
	v_add_f64_e64 v[24:25], v[0:1], -v[10:11]
	v_add_f64_e32 v[13:14], v[8:9], v[0:1]
	v_add_f64_e64 v[26:27], v[10:11], -v[8:9]
	v_add_f64_e64 v[0:1], v[8:9], -v[0:1]
	;; [unrolled: 1-line block ×3, first 2 shown]
	v_mul_f64_e32 v[24:25], s[16:17], v[24:25]
	v_add_f64_e32 v[13:14], v[10:11], v[13:14]
	v_add_f64_e64 v[10:11], v[226:227], -v[81:82]
	s_delay_alu instid0(VALU_DEP_2) | instskip(NEXT) | instid1(VALU_DEP_2)
	v_add_f64_e32 v[20:21], v[48:49], v[13:14]
	v_add_f64_e64 v[38:39], v[10:11], -v[30:31]
	v_add_f64_e32 v[36:37], v[10:11], v[30:31]
	v_add_f64_e64 v[46:47], v[32:33], -v[10:11]
	v_fma_f64 v[10:11], v[26:27], s[22:23], v[24:25]
	v_add_f64_e64 v[30:31], v[179:180], -v[252:253]
	v_fma_f64 v[13:14], v[13:14], s[18:19], v[20:21]
	v_mul_f64_e32 v[38:39], s[20:21], v[38:39]
	v_add_f64_e32 v[36:37], v[36:37], v[32:33]
	v_add_f64_e64 v[32:33], v[187:188], -v[174:175]
	s_delay_alu instid0(VALU_DEP_4) | instskip(NEXT) | instid1(VALU_DEP_4)
	v_add_f64_e32 v[48:49], v[10:11], v[13:14]
	v_fma_f64 v[10:11], v[46:47], s[4:5], v[38:39]
	s_delay_alu instid0(VALU_DEP_1) | instskip(SKIP_2) | instid1(VALU_DEP_3)
	v_fma_f64 v[50:51], v[36:37], s[0:1], v[10:11]
	v_add_nc_u32_e32 v10, 0x2000, v124
	v_add_nc_u32_e32 v11, 0x2800, v129
	v_add_f64_e32 v[53:54], v[50:51], v[48:49]
	v_add_f64_e64 v[2:3], v[48:49], -v[50:51]
	v_add_nc_u32_e32 v48, 0x2800, v125
	ds_store_2addr_b64 v10, v[20:21], v[53:54] offset0:5 offset1:54
	v_mul_f64_e32 v[20:21], s[22:23], v[26:27]
	s_delay_alu instid0(VALU_DEP_1) | instskip(SKIP_3) | instid1(VALU_DEP_4)
	v_fma_f64 v[20:21], v[0:1], s[12:13], -v[20:21]
	v_fma_f64 v[0:1], v[0:1], s[14:15], -v[24:25]
	v_mul_f64_e32 v[24:25], s[2:3], v[8:9]
	v_fma_f64 v[8:9], v[8:9], s[2:3], -v[38:39]
	v_add_f64_e32 v[20:21], v[20:21], v[13:14]
	s_delay_alu instid0(VALU_DEP_4) | instskip(NEXT) | instid1(VALU_DEP_4)
	v_add_f64_e32 v[0:1], v[0:1], v[13:14]
	v_fma_f64 v[24:25], v[46:47], s[10:11], -v[24:25]
	s_delay_alu instid0(VALU_DEP_4) | instskip(NEXT) | instid1(VALU_DEP_2)
	v_fma_f64 v[8:9], v[36:37], s[0:1], v[8:9]
	v_fma_f64 v[13:14], v[36:37], s[0:1], v[24:25]
	s_delay_alu instid0(VALU_DEP_2) | instskip(SKIP_1) | instid1(VALU_DEP_3)
	v_add_f64_e64 v[26:27], v[20:21], -v[8:9]
	v_add_f64_e32 v[8:9], v[8:9], v[20:21]
	v_add_f64_e32 v[24:25], v[13:14], v[0:1]
	v_add_f64_e64 v[0:1], v[0:1], -v[13:14]
	v_add_f64_e32 v[13:14], v[164:165], v[89:90]
	ds_store_2addr_b64 v10, v[24:25], v[26:27] offset0:103 offset1:152
	ds_store_2addr_b64 v10, v[8:9], v[0:1] offset0:201 offset1:250
	v_add_f64_e32 v[0:1], v[198:199], v[85:86]
	v_add_f64_e32 v[8:9], v[152:153], v[232:233]
	v_add_f64_e64 v[26:27], v[130:131], -v[114:115]
	s_delay_alu instid0(VALU_DEP_3) | instskip(NEXT) | instid1(VALU_DEP_3)
	v_add_f64_e64 v[24:25], v[0:1], -v[13:14]
	v_add_f64_e32 v[20:21], v[8:9], v[0:1]
	v_add_f64_e64 v[0:1], v[8:9], -v[0:1]
	s_delay_alu instid0(VALU_DEP_4)
	v_add_f64_e32 v[36:37], v[30:31], v[26:27]
	v_add_f64_e64 v[38:39], v[30:31], -v[26:27]
	v_add_f64_e64 v[30:31], v[32:33], -v[30:31]
	v_mul_f64_e32 v[24:25], s[16:17], v[24:25]
	v_add_f64_e32 v[20:21], v[13:14], v[20:21]
	v_add_f64_e64 v[13:14], v[13:14], -v[8:9]
	v_add_f64_e64 v[8:9], v[26:27], -v[32:33]
	v_add_f64_e32 v[36:37], v[36:37], v[32:33]
	v_mul_f64_e32 v[38:39], s[20:21], v[38:39]
	v_add_f64_e32 v[46:47], v[59:60], v[20:21]
	v_fma_f64 v[53:54], v[13:14], s[22:23], v[24:25]
	v_mul_f64_e32 v[13:14], s[22:23], v[13:14]
	s_delay_alu instid0(VALU_DEP_4) | instskip(NEXT) | instid1(VALU_DEP_4)
	v_fma_f64 v[57:58], v[30:31], s[4:5], v[38:39]
	v_fma_f64 v[20:21], v[20:21], s[18:19], v[46:47]
	s_delay_alu instid0(VALU_DEP_3)
	v_fma_f64 v[13:14], v[0:1], s[12:13], -v[13:14]
	v_fma_f64 v[0:1], v[0:1], s[14:15], -v[24:25]
	v_mul_f64_e32 v[24:25], s[2:3], v[8:9]
	v_fma_f64 v[8:9], v[8:9], s[2:3], -v[38:39]
	v_fma_f64 v[57:58], v[36:37], s[0:1], v[57:58]
	v_add_f64_e64 v[38:39], v[220:221], -v[144:145]
	v_add_f64_e32 v[53:54], v[53:54], v[20:21]
	v_add_f64_e32 v[13:14], v[13:14], v[20:21]
	;; [unrolled: 1-line block ×3, first 2 shown]
	v_fma_f64 v[24:25], v[30:31], s[10:11], -v[24:25]
	v_fma_f64 v[8:9], v[36:37], s[0:1], v[8:9]
	v_add_f64_e32 v[59:60], v[57:58], v[53:54]
	s_delay_alu instid0(VALU_DEP_3) | instskip(NEXT) | instid1(VALU_DEP_3)
	v_fma_f64 v[20:21], v[36:37], s[0:1], v[24:25]
	v_add_f64_e64 v[26:27], v[13:14], -v[8:9]
	v_add_f64_e32 v[8:9], v[8:9], v[13:14]
	v_dual_mov_b32 v14, v236 :: v_dual_mov_b32 v15, v237
	v_add_f64_e64 v[36:37], v[228:229], -v[63:64]
	v_dual_mov_b32 v237, v78 :: v_dual_mov_b32 v236, v77
	ds_store_2addr_b64 v11, v[46:47], v[59:60] offset0:92 offset1:141
	v_add_f64_e32 v[24:25], v[20:21], v[0:1]
	v_add_f64_e64 v[0:1], v[0:1], -v[20:21]
	v_add_f64_e32 v[20:21], v[222:223], v[74:75]
	scratch_load_b64 v[74:75], off, off offset:124 th:TH_LOAD_LU ; 8-byte Folded Reload
	ds_store_2addr_b64 v11, v[24:25], v[26:27] offset0:190 offset1:239
	ds_store_2addr_b64 v93, v[8:9], v[0:1] offset0:32 offset1:81
	v_add_f64_e32 v[0:1], v[14:15], v[6:7]
	v_add_f64_e32 v[8:9], v[172:173], v[210:211]
	s_delay_alu instid0(VALU_DEP_2) | instskip(NEXT) | instid1(VALU_DEP_2)
	v_add_f64_e32 v[24:25], v[20:21], v[0:1]
	v_add_f64_e64 v[30:31], v[0:1], -v[8:9]
	v_add_f64_e64 v[32:33], v[8:9], -v[20:21]
	v_add_f64_e64 v[0:1], v[20:21], -v[0:1]
	v_add_f64_e64 v[20:21], v[36:37], -v[38:39]
	v_add_f64_e32 v[24:25], v[8:9], v[24:25]
	v_mul_f64_e32 v[30:31], s[16:17], v[30:31]
	s_delay_alu instid0(VALU_DEP_2) | instskip(NEXT) | instid1(VALU_DEP_1)
	v_add_f64_e32 v[26:27], v[61:62], v[24:25]
	v_fma_f64 v[24:25], v[24:25], s[18:19], v[26:27]
	s_wait_loadcnt 0x0
	v_add_f64_e64 v[8:9], v[74:75], -v[212:213]
	s_delay_alu instid0(VALU_DEP_1) | instskip(SKIP_3) | instid1(VALU_DEP_4)
	v_add_f64_e64 v[59:60], v[8:9], -v[36:37]
	v_add_f64_e32 v[46:47], v[8:9], v[36:37]
	v_add_f64_e64 v[61:62], v[38:39], -v[8:9]
	v_fma_f64 v[8:9], v[32:33], s[22:23], v[30:31]
	v_mul_f64_e32 v[59:60], s[20:21], v[59:60]
	s_delay_alu instid0(VALU_DEP_4) | instskip(SKIP_1) | instid1(VALU_DEP_4)
	v_add_f64_e32 v[46:47], v[46:47], v[38:39]
	v_add_f64_e64 v[38:39], v[190:191], -v[150:151]
	v_add_f64_e32 v[63:64], v[8:9], v[24:25]
	s_delay_alu instid0(VALU_DEP_4) | instskip(NEXT) | instid1(VALU_DEP_1)
	v_fma_f64 v[8:9], v[61:62], s[4:5], v[59:60]
	v_fma_f64 v[65:66], v[46:47], s[0:1], v[8:9]
	v_lshl_add_u32 v8, v56, 3, 0
	v_lshl_add_u32 v9, v178, 3, 0
	v_mov_b32_e32 v178, v72
	s_delay_alu instid0(VALU_DEP_3) | instskip(SKIP_1) | instid1(VALU_DEP_4)
	v_add_nc_u32_e32 v12, 0x3000, v8
	v_add_nc_u32_e32 v13, 0x3800, v8
	v_add_nc_u32_e32 v128, 0x4000, v9
	v_add_f64_e32 v[55:56], v[65:66], v[63:64]
	ds_store_2addr_b64 v12, v[26:27], v[55:56] offset0:179 offset1:228
	v_mul_f64_e32 v[26:27], s[22:23], v[32:33]
	s_delay_alu instid0(VALU_DEP_1) | instskip(SKIP_3) | instid1(VALU_DEP_4)
	v_fma_f64 v[26:27], v[0:1], s[12:13], -v[26:27]
	v_fma_f64 v[0:1], v[0:1], s[14:15], -v[30:31]
	v_mul_f64_e32 v[30:31], s[2:3], v[20:21]
	v_fma_f64 v[20:21], v[20:21], s[2:3], -v[59:60]
	v_add_f64_e32 v[26:27], v[26:27], v[24:25]
	s_delay_alu instid0(VALU_DEP_4) | instskip(NEXT) | instid1(VALU_DEP_4)
	v_add_f64_e32 v[0:1], v[0:1], v[24:25]
	v_fma_f64 v[30:31], v[61:62], s[10:11], -v[30:31]
	s_delay_alu instid0(VALU_DEP_4) | instskip(NEXT) | instid1(VALU_DEP_2)
	v_fma_f64 v[20:21], v[46:47], s[0:1], v[20:21]
	v_fma_f64 v[24:25], v[46:47], s[0:1], v[30:31]
	s_delay_alu instid0(VALU_DEP_2) | instskip(SKIP_2) | instid1(VALU_DEP_4)
	v_add_f64_e64 v[32:33], v[26:27], -v[20:21]
	v_add_f64_e32 v[20:21], v[20:21], v[26:27]
	v_add_f64_e64 v[46:47], v[126:127], -v[34:35]
	v_add_f64_e32 v[30:31], v[24:25], v[0:1]
	;; [unrolled: 2-line block ×3, first 2 shown]
	ds_store_2addr_b64 v13, v[30:31], v[32:33] offset0:21 offset1:70
	ds_store_2addr_b64 v13, v[20:21], v[0:1] offset0:119 offset1:168
	v_add_f64_e32 v[0:1], v[176:177], v[77:78]
	v_dual_mov_b32 v77, v230 :: v_dual_mov_b32 v78, v231
	v_dual_mov_b32 v231, v70 :: v_dual_mov_b32 v230, v69
	s_delay_alu instid0(VALU_DEP_1) | instskip(NEXT) | instid1(VALU_DEP_4)
	v_add_f64_e32 v[20:21], v[77:78], v[230:231]
	v_add_f64_e64 v[32:33], v[0:1], -v[24:25]
	s_delay_alu instid0(VALU_DEP_2) | instskip(SKIP_1) | instid1(VALU_DEP_3)
	v_add_f64_e32 v[26:27], v[20:21], v[0:1]
	v_add_f64_e64 v[0:1], v[20:21], -v[0:1]
	v_mul_f64_e32 v[32:33], s[16:17], v[32:33]
	s_delay_alu instid0(VALU_DEP_3) | instskip(SKIP_1) | instid1(VALU_DEP_2)
	v_add_f64_e32 v[26:27], v[24:25], v[26:27]
	v_add_f64_e64 v[24:25], v[24:25], -v[20:21]
	v_add_f64_e32 v[30:31], v[250:251], v[26:27]
	scratch_load_b64 v[250:251], off, off offset:140 th:TH_LOAD_LU ; 8-byte Folded Reload
	v_fma_f64 v[61:62], v[24:25], s[22:23], v[32:33]
	v_mul_f64_e32 v[24:25], s[22:23], v[24:25]
	v_fma_f64 v[26:27], v[26:27], s[18:19], v[30:31]
	s_delay_alu instid0(VALU_DEP_2) | instskip(SKIP_1) | instid1(VALU_DEP_3)
	v_fma_f64 v[24:25], v[0:1], s[12:13], -v[24:25]
	v_fma_f64 v[0:1], v[0:1], s[14:15], -v[32:33]
	v_add_f64_e32 v[61:62], v[61:62], v[26:27]
	s_delay_alu instid0(VALU_DEP_3) | instskip(NEXT) | instid1(VALU_DEP_3)
	v_add_f64_e32 v[24:25], v[24:25], v[26:27]
	v_add_f64_e32 v[0:1], v[0:1], v[26:27]
	s_wait_loadcnt 0x0
	v_add_f64_e64 v[36:37], v[250:251], -v[160:161]
	s_delay_alu instid0(VALU_DEP_1)
	v_add_f64_e64 v[59:60], v[38:39], -v[36:37]
	v_add_f64_e32 v[55:56], v[38:39], v[36:37]
	v_add_f64_e64 v[38:39], v[46:47], -v[38:39]
	v_add_f64_e64 v[20:21], v[36:37], -v[46:47]
	v_mov_b32_e32 v36, v71
	v_mul_f64_e32 v[59:60], s[20:21], v[59:60]
	v_add_f64_e32 v[55:56], v[55:56], v[46:47]
	s_delay_alu instid0(VALU_DEP_2) | instskip(NEXT) | instid1(VALU_DEP_1)
	v_fma_f64 v[67:68], v[38:39], s[4:5], v[59:60]
	v_fma_f64 v[67:68], v[55:56], s[0:1], v[67:68]
	s_delay_alu instid0(VALU_DEP_1) | instskip(SKIP_3) | instid1(VALU_DEP_2)
	v_add_f64_e32 v[69:70], v[67:68], v[61:62]
	ds_store_2addr_b64 v128, v[30:31], v[69:70] offset0:10 offset1:59
	v_mul_f64_e32 v[30:31], s[2:3], v[20:21]
	v_fma_f64 v[20:21], v[20:21], s[2:3], -v[59:60]
	v_fma_f64 v[30:31], v[38:39], s[10:11], -v[30:31]
	s_delay_alu instid0(VALU_DEP_2) | instskip(NEXT) | instid1(VALU_DEP_2)
	v_fma_f64 v[20:21], v[55:56], s[0:1], v[20:21]
	v_fma_f64 v[26:27], v[55:56], s[0:1], v[30:31]
	s_delay_alu instid0(VALU_DEP_2) | instskip(SKIP_2) | instid1(VALU_DEP_4)
	v_add_f64_e64 v[32:33], v[24:25], -v[20:21]
	v_add_f64_e32 v[20:21], v[20:21], v[24:25]
	v_add_f64_e64 v[24:25], v[63:64], -v[65:66]
	v_add_f64_e32 v[30:31], v[26:27], v[0:1]
	v_add_f64_e64 v[0:1], v[0:1], -v[26:27]
	v_add_f64_e64 v[26:27], v[61:62], -v[67:68]
	v_add_nc_u32_e32 v68, 0x1800, v125
	ds_store_2addr_b64 v128, v[30:31], v[32:33] offset0:108 offset1:157
	ds_store_2addr_b64 v128, v[20:21], v[0:1] offset0:206 offset1:255
	v_add_f64_e64 v[0:1], v[42:43], -v[44:45]
	v_add_f64_e64 v[20:21], v[53:54], -v[57:58]
	ds_store_b64 v117, v[0:1] offset:7840
	ds_store_b64 v124, v[2:3] offset:10584
	;; [unrolled: 1-line block ×5, first 2 shown]
	v_add_f64_e32 v[0:1], v[120:121], v[118:119]
	v_add_f64_e64 v[2:3], v[118:119], -v[22:23]
	v_add_f64_e64 v[20:21], v[28:29], -v[132:133]
	global_wb scope:SCOPE_SE
	s_wait_dscnt 0x0
	s_barrier_signal -1
	s_barrier_wait -1
	global_inv scope:SCOPE_SE
	ds_load_2addr_b64 v[53:56], v73 offset0:84 offset1:133
	v_dual_mov_b32 v57, v178 :: v_dual_mov_b32 v58, v189
	v_add_f64_e32 v[0:1], v[22:23], v[0:1]
	v_mul_f64_e32 v[244:245], s[16:17], v[2:3]
	v_add_f64_e32 v[2:3], v[28:29], v[132:133]
	v_add_f64_e64 v[22:23], v[18:19], -v[28:29]
	v_mul_f64_e32 v[20:21], s[20:21], v[20:21]
	v_add_f64_e32 v[106:107], v[106:107], v[0:1]
	v_fma_f64 v[24:25], v[134:135], s[22:23], v[244:245]
	v_add_f64_e32 v[2:3], v[2:3], v[18:19]
	v_add_f64_e64 v[18:19], v[132:133], -v[18:19]
	s_delay_alu instid0(VALU_DEP_4) | instskip(NEXT) | instid1(VALU_DEP_1)
	v_fma_f64 v[0:1], v[0:1], s[18:19], v[106:107]
	v_add_f64_e32 v[110:111], v[24:25], v[0:1]
	v_fma_f64 v[24:25], v[22:23], s[4:5], v[20:21]
	s_delay_alu instid0(VALU_DEP_1)
	v_fma_f64 v[112:113], v[2:3], s[0:1], v[24:25]
	ds_load_b64 v[24:25], v125 offset:18816
	s_wait_dscnt 0x0
	scratch_store_b64 off, v[24:25], off offset:228 ; 8-byte Folded Spill
	ds_load_2addr_b64 v[24:27], v125 offset1:49
	v_add_f64_e64 v[140:141], v[110:111], -v[112:113]
	s_wait_dscnt 0x0
	scratch_store_b128 off, v[24:27], off offset:260 ; 16-byte Folded Spill
	ds_load_2addr_b64 v[24:27], v209 offset0:38 offset1:87
	s_wait_dscnt 0x0
	scratch_store_b128 off, v[24:27], off offset:212 ; 16-byte Folded Spill
	ds_load_2addr_b64 v[24:27], v189 offset0:174 offset1:223
	s_wait_dscnt 0x0
	scratch_store_b128 off, v[24:27], off offset:276 ; 16-byte Folded Spill
	v_mov_b32_e32 v24, v73
	scratch_store_b32 off, v24, off offset:172 ; 4-byte Folded Spill
	ds_load_2addr_b64 v[24:27], v48 offset0:92 offset1:141
	s_wait_dscnt 0x0
	scratch_store_b128 off, v[24:27], off offset:244 ; 16-byte Folded Spill
	ds_load_2addr_b64 v[44:47], v79 offset0:130 offset1:179
	ds_load_2addr_b64 v[24:27], v208 offset0:10 offset1:59
	ds_load_2addr_b64 v[40:43], v125 offset0:98 offset1:147
	scratch_store_b32 off, v36, off offset:20 ; 4-byte Folded Spill
	s_wait_dscnt 0x1
	scratch_store_b128 off, v[24:27], off offset:324 ; 16-byte Folded Spill
	s_wait_dscnt 0x0
	scratch_store_b128 off, v[40:43], off offset:180 ; 16-byte Folded Spill
	ds_load_2addr_b64 v[24:27], v209 offset0:136 offset1:185
	s_wait_dscnt 0x0
	scratch_store_b128 off, v[24:27], off offset:308 ; 16-byte Folded Spill
	ds_load_2addr_b64 v[24:27], v142 offset0:54 offset1:103
	;; [unrolled: 3-line block ×4, first 2 shown]
	s_wait_dscnt 0x0
	s_clause 0x1
	scratch_store_b128 off, v[24:27], off offset:412
	scratch_store_b32 off, v48, off offset:36
	ds_load_2addr_b64 v[24:27], v48 offset0:190 offset1:239
	scratch_store_b32 off, v142, off offset:236 ; 4-byte Folded Spill
	ds_load_2addr_b64 v[60:63], v72 offset0:106 offset1:155
	v_mov_b32_e32 v72, v76
	s_wait_dscnt 0x1
	scratch_store_b128 off, v[24:27], off offset:356 ; 16-byte Folded Spill
	ds_load_2addr_b64 v[24:27], v208 offset0:108 offset1:157
	s_wait_dscnt 0x0
	scratch_store_b128 off, v[24:27], off offset:372 ; 16-byte Folded Spill
	ds_load_2addr_b64 v[24:27], v142 offset0:152 offset1:201
	s_wait_dscnt 0x0
	scratch_store_b128 off, v[24:27], off offset:396 ; 16-byte Folded Spill
	ds_load_2addr_b64 v[48:51], v76 offset0:70 offset1:119
	ds_load_2addr_b64 v[64:67], v125 offset0:196 offset1:245
	s_wait_dscnt 0x0
	s_clause 0x1
	scratch_store_b128 off, v[64:67], off offset:196
	scratch_store_b32 off, v68, off offset:76
	v_mov_b32_e32 v64, v79
	scratch_store_b32 off, v208, off offset:52 ; 4-byte Folded Spill
	ds_load_2addr_b64 v[68:71], v68 offset0:114 offset1:163
	scratch_store_b32 off, v64, off offset:92 ; 4-byte Folded Spill
	ds_load_2addr_b64 v[64:67], v79 offset0:32 offset1:81
	ds_load_2addr_b64 v[24:27], v208 offset0:206 offset1:255
	;; [unrolled: 1-line block ×3, first 2 shown]
	scratch_store_b32 off, v116, off offset:164 ; 4-byte Folded Spill
	ds_load_2addr_b64 v[28:31], v116 offset0:122 offset1:171
	ds_load_2addr_b64 v[40:43], v76 offset0:168 offset1:217
	global_wb scope:SCOPE_SE
	s_wait_storecnt_dscnt 0x0
	s_barrier_signal -1
	s_barrier_wait -1
	global_inv scope:SCOPE_SE
	ds_store_2addr_b64 v125, v[106:107], v[140:141] offset1:49
	v_add_f64_e64 v[106:107], v[120:121], -v[118:119]
	v_mul_f64_e32 v[118:119], s[22:23], v[134:135]
	v_mul_f64_e32 v[120:121], s[2:3], v[18:19]
	v_fma_f64 v[18:19], v[18:19], s[2:3], -v[20:21]
	scratch_store_b32 off, v125, off offset:428 ; 4-byte Folded Spill
	v_fma_f64 v[118:119], v[106:107], s[12:13], -v[118:119]
	v_fma_f64 v[106:107], v[106:107], s[14:15], -v[244:245]
	;; [unrolled: 1-line block ×3, first 2 shown]
	v_mov_b32_e32 v244, v209
	s_delay_alu instid0(VALU_DEP_4) | instskip(NEXT) | instid1(VALU_DEP_4)
	v_add_f64_e32 v[20:21], v[118:119], v[0:1]
	v_add_f64_e32 v[0:1], v[106:107], v[0:1]
	s_delay_alu instid0(VALU_DEP_4) | instskip(SKIP_1) | instid1(VALU_DEP_2)
	v_fma_f64 v[22:23], v[2:3], s[0:1], v[22:23]
	v_fma_f64 v[2:3], v[2:3], s[0:1], v[18:19]
	v_add_f64_e64 v[18:19], v[0:1], -v[22:23]
	s_delay_alu instid0(VALU_DEP_2)
	v_add_f64_e32 v[106:107], v[2:3], v[20:21]
	v_add_f64_e64 v[2:3], v[20:21], -v[2:3]
	v_add_f64_e32 v[0:1], v[22:23], v[0:1]
	v_add_f64_e32 v[20:21], v[156:157], v[196:197]
	v_add_f64_e64 v[22:23], v[192:193], -v[148:149]
	ds_store_2addr_b64 v125, v[18:19], v[106:107] offset0:98 offset1:147
	v_add_f64_e64 v[18:19], v[170:171], -v[100:101]
	ds_store_2addr_b64 v125, v[2:3], v[0:1] offset0:196 offset1:245
	v_add_f64_e32 v[0:1], v[16:17], v[204:205]
	v_add_f64_e32 v[2:3], v[185:186], v[154:155]
	;; [unrolled: 1-line block ×3, first 2 shown]
	v_add_f64_e64 v[112:113], v[22:23], -v[18:19]
	s_delay_alu instid0(VALU_DEP_3) | instskip(SKIP_3) | instid1(VALU_DEP_4)
	v_add_f64_e32 v[106:107], v[2:3], v[0:1]
	v_add_f64_e64 v[110:111], v[2:3], -v[0:1]
	v_add_f64_e64 v[0:1], v[0:1], -v[20:21]
	v_add_f64_e64 v[2:3], v[20:21], -v[2:3]
	v_add_f64_e32 v[106:107], v[20:21], v[106:107]
	s_delay_alu instid0(VALU_DEP_3) | instskip(NEXT) | instid1(VALU_DEP_2)
	v_mul_f64_e32 v[0:1], s[16:17], v[0:1]
	v_add_f64_e32 v[20:21], v[108:109], v[106:107]
	v_add_f64_e32 v[108:109], v[22:23], v[18:19]
	v_add_f64_e64 v[18:19], v[18:19], -v[4:5]
	v_add_f64_e64 v[22:23], v[4:5], -v[22:23]
	ds_store_2addr_b64 v209, v[16:17], v[20:21] offset0:38 offset1:87
	v_add_f64_e32 v[4:5], v[108:109], v[4:5]
	v_fma_f64 v[16:17], v[106:107], s[18:19], v[20:21]
	v_fma_f64 v[20:21], v[2:3], s[22:23], v[0:1]
	v_mul_f64_e32 v[106:107], s[20:21], v[112:113]
	v_mul_f64_e32 v[108:109], s[2:3], v[18:19]
	;; [unrolled: 1-line block ×3, first 2 shown]
	v_fma_f64 v[0:1], v[110:111], s[14:15], -v[0:1]
	v_add_f64_e32 v[20:21], v[20:21], v[16:17]
	v_fma_f64 v[18:19], v[18:19], s[2:3], -v[106:107]
	v_fma_f64 v[108:109], v[22:23], s[10:11], -v[108:109]
	v_fma_f64 v[22:23], v[22:23], s[4:5], v[106:107]
	v_fma_f64 v[2:3], v[110:111], s[12:13], -v[2:3]
	v_add_f64_e32 v[0:1], v[0:1], v[16:17]
	s_delay_alu instid0(VALU_DEP_4) | instskip(NEXT) | instid1(VALU_DEP_4)
	v_fma_f64 v[108:109], v[4:5], s[0:1], v[108:109]
	v_fma_f64 v[22:23], v[4:5], s[0:1], v[22:23]
	s_delay_alu instid0(VALU_DEP_4)
	v_add_f64_e32 v[2:3], v[2:3], v[16:17]
	v_fma_f64 v[4:5], v[4:5], s[0:1], v[18:19]
	v_add_f64_e32 v[18:19], v[242:243], v[214:215]
	v_add_f64_e64 v[112:113], v[0:1], -v[108:109]
	v_add_f64_e64 v[118:119], v[20:21], -v[22:23]
	v_add_f64_e32 v[0:1], v[108:109], v[0:1]
	v_add_f64_e32 v[16:17], v[4:5], v[2:3]
	v_add_f64_e64 v[2:3], v[2:3], -v[4:5]
	v_add_f64_e64 v[4:5], v[254:255], -v[162:163]
	ds_store_2addr_b64 v209, v[118:119], v[112:113] offset0:136 offset1:185
	ds_store_2addr_b64 v178, v[16:17], v[2:3] offset0:106 offset1:155
	v_add_f64_e32 v[2:3], v[22:23], v[20:21]
	scratch_load_b64 v[20:21], off, off offset:156 th:TH_LOAD_LU ; 8-byte Folded Reload
	v_add_f64_e64 v[16:17], v[248:249], -v[246:247]
	ds_store_2addr_b64 v189, v[0:1], v[2:3] offset0:76 offset1:125
	v_add_f64_e32 v[0:1], v[234:235], v[83:84]
	v_add_f64_e32 v[2:3], v[206:207], v[238:239]
	s_delay_alu instid0(VALU_DEP_2) | instskip(NEXT) | instid1(VALU_DEP_2)
	v_add_f64_e64 v[106:107], v[0:1], -v[18:19]
	v_add_f64_e32 v[22:23], v[2:3], v[0:1]
	v_add_f64_e64 v[0:1], v[2:3], -v[0:1]
	s_delay_alu instid0(VALU_DEP_3) | instskip(NEXT) | instid1(VALU_DEP_3)
	v_mul_f64_e32 v[106:107], s[16:17], v[106:107]
	v_add_f64_e32 v[22:23], v[18:19], v[22:23]
	v_add_f64_e64 v[18:19], v[18:19], -v[2:3]
	v_add_f64_e64 v[2:3], v[16:17], -v[4:5]
	s_delay_alu instid0(VALU_DEP_3) | instskip(NEXT) | instid1(VALU_DEP_3)
	v_add_f64_e32 v[102:103], v[102:103], v[22:23]
	v_fma_f64 v[112:113], v[18:19], s[22:23], v[106:107]
	s_delay_alu instid0(VALU_DEP_2) | instskip(NEXT) | instid1(VALU_DEP_1)
	v_fma_f64 v[22:23], v[22:23], s[18:19], v[102:103]
	v_add_f64_e32 v[112:113], v[112:113], v[22:23]
	s_wait_loadcnt 0x0
	v_add_f64_e64 v[20:21], v[168:169], -v[20:21]
	s_delay_alu instid0(VALU_DEP_1) | instskip(SKIP_2) | instid1(VALU_DEP_3)
	v_add_f64_e64 v[110:111], v[20:21], -v[16:17]
	v_add_f64_e32 v[108:109], v[20:21], v[16:17]
	v_add_f64_e64 v[20:21], v[4:5], -v[20:21]
	v_mul_f64_e32 v[110:111], s[20:21], v[110:111]
	s_delay_alu instid0(VALU_DEP_3) | instskip(SKIP_1) | instid1(VALU_DEP_3)
	v_add_f64_e32 v[108:109], v[108:109], v[4:5]
	v_mul_f64_e32 v[4:5], s[22:23], v[18:19]
	v_fma_f64 v[16:17], v[2:3], s[2:3], -v[110:111]
	v_mul_f64_e32 v[2:3], s[2:3], v[2:3]
	s_delay_alu instid0(VALU_DEP_3)
	v_fma_f64 v[4:5], v[0:1], s[12:13], -v[4:5]
	v_fma_f64 v[0:1], v[0:1], s[14:15], -v[106:107]
	v_fma_f64 v[118:119], v[20:21], s[4:5], v[110:111]
	v_fma_f64 v[16:17], v[108:109], s[0:1], v[16:17]
	v_fma_f64 v[2:3], v[20:21], s[10:11], -v[2:3]
	v_add_f64_e32 v[4:5], v[4:5], v[22:23]
	v_add_f64_e32 v[0:1], v[0:1], v[22:23]
	v_fma_f64 v[118:119], v[108:109], s[0:1], v[118:119]
	s_delay_alu instid0(VALU_DEP_4) | instskip(NEXT) | instid1(VALU_DEP_4)
	v_fma_f64 v[2:3], v[108:109], s[0:1], v[2:3]
	v_add_f64_e32 v[18:19], v[16:17], v[4:5]
	v_add_f64_e64 v[4:5], v[4:5], -v[16:17]
	v_add_f64_e64 v[16:17], v[94:95], -v[91:92]
	v_add_f64_e64 v[120:121], v[112:113], -v[118:119]
	v_add_f64_e64 v[20:21], v[0:1], -v[2:3]
	v_add_f64_e32 v[0:1], v[2:3], v[0:1]
	v_add_f64_e32 v[2:3], v[166:167], v[87:88]
	ds_store_2addr_b64 v52, v[102:103], v[120:121] offset0:174 offset1:223
	ds_store_2addr_b64 v143, v[20:21], v[18:19] offset0:16 offset1:65
	;; [unrolled: 1-line block ×3, first 2 shown]
	v_add_f64_e32 v[0:1], v[122:123], v[136:137]
	v_add_f64_e32 v[18:19], v[81:82], v[226:227]
	v_add_f64_e64 v[20:21], v[194:195], -v[158:159]
	v_add_f64_e64 v[4:5], v[181:182], -v[98:99]
	s_delay_alu instid0(VALU_DEP_4) | instskip(NEXT) | instid1(VALU_DEP_3)
	v_add_f64_e32 v[22:23], v[2:3], v[0:1]
	v_add_f64_e64 v[108:109], v[20:21], -v[16:17]
	v_add_f64_e32 v[106:107], v[20:21], v[16:17]
	s_delay_alu instid0(VALU_DEP_4) | instskip(NEXT) | instid1(VALU_DEP_4)
	v_add_f64_e64 v[20:21], v[4:5], -v[20:21]
	v_add_f64_e32 v[22:23], v[18:19], v[22:23]
	s_delay_alu instid0(VALU_DEP_4) | instskip(NEXT) | instid1(VALU_DEP_4)
	v_mul_f64_e32 v[108:109], s[20:21], v[108:109]
	v_add_f64_e32 v[106:107], v[106:107], v[4:5]
	s_delay_alu instid0(VALU_DEP_3)
	v_add_f64_e32 v[102:103], v[104:105], v[22:23]
	v_add_f64_e64 v[104:105], v[0:1], -v[18:19]
	v_add_f64_e64 v[18:19], v[18:19], -v[2:3]
	;; [unrolled: 1-line block ×4, first 2 shown]
	v_fma_f64 v[120:121], v[20:21], s[4:5], v[108:109]
	v_fma_f64 v[22:23], v[22:23], s[18:19], v[102:103]
	v_mul_f64_e32 v[104:105], s[16:17], v[104:105]
	v_mul_f64_e32 v[4:5], s[22:23], v[18:19]
	v_fma_f64 v[16:17], v[2:3], s[2:3], -v[108:109]
	v_mul_f64_e32 v[2:3], s[2:3], v[2:3]
	v_fma_f64 v[120:121], v[106:107], s[0:1], v[120:121]
	v_fma_f64 v[110:111], v[18:19], s[22:23], v[104:105]
	v_fma_f64 v[4:5], v[0:1], s[12:13], -v[4:5]
	v_fma_f64 v[0:1], v[0:1], s[14:15], -v[104:105]
	v_fma_f64 v[16:17], v[106:107], s[0:1], v[16:17]
	v_fma_f64 v[2:3], v[20:21], s[10:11], -v[2:3]
	v_add_f64_e32 v[110:111], v[110:111], v[22:23]
	v_add_f64_e32 v[4:5], v[4:5], v[22:23]
	v_add_f64_e32 v[0:1], v[0:1], v[22:23]
	s_delay_alu instid0(VALU_DEP_4) | instskip(NEXT) | instid1(VALU_DEP_4)
	v_fma_f64 v[2:3], v[106:107], s[0:1], v[2:3]
	v_add_f64_e64 v[122:123], v[110:111], -v[120:121]
	s_delay_alu instid0(VALU_DEP_4)
	v_add_f64_e32 v[18:19], v[16:17], v[4:5]
	v_add_f64_e64 v[4:5], v[4:5], -v[16:17]
	v_add_f64_e64 v[16:17], v[152:153], -v[232:233]
	;; [unrolled: 1-line block ×3, first 2 shown]
	v_add_f64_e32 v[0:1], v[2:3], v[0:1]
	v_add_f64_e32 v[2:3], v[130:131], v[114:115]
	ds_store_2addr_b64 v10, v[102:103], v[122:123] offset0:5 offset1:54
	ds_store_2addr_b64 v10, v[20:21], v[18:19] offset0:103 offset1:152
	;; [unrolled: 1-line block ×3, first 2 shown]
	v_add_f64_e32 v[0:1], v[187:188], v[174:175]
	v_add_f64_e64 v[20:21], v[89:90], -v[164:165]
	v_add_f64_e64 v[4:5], v[198:199], -v[85:86]
	v_add_f64_e32 v[18:19], v[252:253], v[179:180]
	s_delay_alu instid0(VALU_DEP_4) | instskip(NEXT) | instid1(VALU_DEP_4)
	v_add_f64_e32 v[22:23], v[2:3], v[0:1]
	v_add_f64_e64 v[106:107], v[20:21], -v[16:17]
	v_add_f64_e32 v[104:105], v[20:21], v[16:17]
	s_delay_alu instid0(VALU_DEP_4)
	v_add_f64_e64 v[102:103], v[0:1], -v[18:19]
	v_add_f64_e64 v[0:1], v[2:3], -v[0:1]
	;; [unrolled: 1-line block ×3, first 2 shown]
	v_add_f64_e32 v[22:23], v[18:19], v[22:23]
	v_add_f64_e64 v[18:19], v[18:19], -v[2:3]
	v_mul_f64_e32 v[106:107], s[20:21], v[106:107]
	v_add_f64_e64 v[2:3], v[16:17], -v[4:5]
	v_add_f64_e32 v[104:105], v[104:105], v[4:5]
	v_mul_f64_e32 v[102:103], s[16:17], v[102:103]
	v_add_f64_e32 v[98:99], v[216:217], v[22:23]
	v_mul_f64_e32 v[4:5], s[22:23], v[18:19]
	v_fma_f64 v[122:123], v[20:21], s[4:5], v[106:107]
	v_fma_f64 v[16:17], v[2:3], s[2:3], -v[106:107]
	v_mul_f64_e32 v[2:3], s[2:3], v[2:3]
	v_fma_f64 v[108:109], v[18:19], s[22:23], v[102:103]
	v_fma_f64 v[22:23], v[22:23], s[18:19], v[98:99]
	v_fma_f64 v[4:5], v[0:1], s[12:13], -v[4:5]
	v_fma_f64 v[0:1], v[0:1], s[14:15], -v[102:103]
	v_fma_f64 v[122:123], v[104:105], s[0:1], v[122:123]
	v_fma_f64 v[2:3], v[20:21], s[10:11], -v[2:3]
	v_fma_f64 v[16:17], v[104:105], s[0:1], v[16:17]
	v_add_f64_e32 v[108:109], v[108:109], v[22:23]
	v_add_f64_e32 v[4:5], v[4:5], v[22:23]
	;; [unrolled: 1-line block ×3, first 2 shown]
	v_fma_f64 v[2:3], v[104:105], s[0:1], v[2:3]
	s_delay_alu instid0(VALU_DEP_4) | instskip(NEXT) | instid1(VALU_DEP_4)
	v_add_f64_e64 v[130:131], v[108:109], -v[122:123]
	v_add_f64_e32 v[18:19], v[16:17], v[4:5]
	v_add_f64_e64 v[4:5], v[4:5], -v[16:17]
	v_add_f64_e32 v[16:17], v[212:213], v[74:75]
	;; [unrolled: 2-line block ×3, first 2 shown]
	v_add_f64_e32 v[2:3], v[228:229], v[224:225]
	ds_store_2addr_b64 v11, v[98:99], v[130:131] offset0:92 offset1:141
	ds_store_2addr_b64 v11, v[20:21], v[18:19] offset0:190 offset1:239
	;; [unrolled: 1-line block ×3, first 2 shown]
	v_add_f64_e32 v[0:1], v[220:221], v[144:145]
	v_add_f64_e64 v[4:5], v[14:15], -v[6:7]
	v_add_f64_e64 v[10:11], v[222:223], -v[240:241]
	;; [unrolled: 1-line block ×3, first 2 shown]
	s_delay_alu instid0(VALU_DEP_4) | instskip(SKIP_2) | instid1(VALU_DEP_4)
	v_add_f64_e32 v[18:19], v[2:3], v[0:1]
	v_add_f64_e64 v[22:23], v[0:1], -v[16:17]
	v_add_f64_e64 v[0:1], v[2:3], -v[0:1]
	;; [unrolled: 1-line block ×3, first 2 shown]
	v_add_f64_e32 v[98:99], v[6:7], v[10:11]
	v_add_f64_e64 v[6:7], v[4:5], -v[6:7]
	v_add_f64_e32 v[18:19], v[16:17], v[18:19]
	v_add_f64_e64 v[16:17], v[16:17], -v[2:3]
	v_add_f64_e64 v[2:3], v[10:11], -v[4:5]
	v_mul_f64_e32 v[100:101], s[20:21], v[100:101]
	v_mul_f64_e32 v[22:23], s[16:17], v[22:23]
	v_add_f64_e32 v[98:99], v[98:99], v[4:5]
	v_add_f64_e32 v[20:21], v[218:219], v[18:19]
	v_mul_f64_e32 v[4:5], s[22:23], v[16:17]
	v_fma_f64 v[10:11], v[2:3], s[2:3], -v[100:101]
	v_mul_f64_e32 v[2:3], s[2:3], v[2:3]
	v_fma_f64 v[102:103], v[16:17], s[22:23], v[22:23]
	v_fma_f64 v[104:105], v[6:7], s[4:5], v[100:101]
	;; [unrolled: 1-line block ×3, first 2 shown]
	v_fma_f64 v[4:5], v[0:1], s[12:13], -v[4:5]
	v_fma_f64 v[0:1], v[0:1], s[14:15], -v[22:23]
	;; [unrolled: 1-line block ×3, first 2 shown]
	v_fma_f64 v[6:7], v[98:99], s[0:1], v[10:11]
	v_fma_f64 v[104:105], v[98:99], s[0:1], v[104:105]
	v_add_f64_e32 v[102:103], v[102:103], v[18:19]
	v_add_f64_e32 v[4:5], v[4:5], v[18:19]
	v_add_f64_e32 v[0:1], v[0:1], v[18:19]
	v_fma_f64 v[2:3], v[98:99], s[0:1], v[2:3]
	s_delay_alu instid0(VALU_DEP_4) | instskip(NEXT) | instid1(VALU_DEP_4)
	v_add_f64_e64 v[106:107], v[102:103], -v[104:105]
	v_add_f64_e32 v[10:11], v[6:7], v[4:5]
	v_add_f64_e64 v[4:5], v[4:5], -v[6:7]
	v_add_f64_e64 v[6:7], v[77:78], -v[230:231]
	;; [unrolled: 1-line block ×3, first 2 shown]
	v_add_f64_e32 v[0:1], v[2:3], v[0:1]
	v_add_f64_e32 v[2:3], v[250:251], v[160:161]
	ds_store_2addr_b64 v12, v[20:21], v[106:107] offset0:179 offset1:228
	ds_store_2addr_b64 v13, v[14:15], v[10:11] offset0:21 offset1:70
	;; [unrolled: 1-line block ×3, first 2 shown]
	v_add_f64_e32 v[0:1], v[126:127], v[34:35]
	v_add_f64_e64 v[12:13], v[138:139], -v[146:147]
	v_add_f64_e64 v[4:5], v[176:177], -v[236:237]
	v_add_f64_e32 v[10:11], v[150:151], v[190:191]
	s_delay_alu instid0(VALU_DEP_4) | instskip(NEXT) | instid1(VALU_DEP_4)
	v_add_f64_e32 v[14:15], v[2:3], v[0:1]
	v_add_f64_e64 v[22:23], v[12:13], -v[6:7]
	v_add_f64_e32 v[20:21], v[12:13], v[6:7]
	s_delay_alu instid0(VALU_DEP_4)
	v_add_f64_e64 v[18:19], v[0:1], -v[10:11]
	v_add_f64_e64 v[0:1], v[2:3], -v[0:1]
	;; [unrolled: 1-line block ×3, first 2 shown]
	v_add_f64_e32 v[14:15], v[10:11], v[14:15]
	v_add_f64_e64 v[10:11], v[10:11], -v[2:3]
	v_mul_f64_e32 v[22:23], s[20:21], v[22:23]
	v_add_f64_e64 v[2:3], v[6:7], -v[4:5]
	v_mul_f64_e32 v[18:19], s[16:17], v[18:19]
	v_add_f64_e32 v[20:21], v[20:21], v[4:5]
	v_add_f64_e32 v[16:17], v[96:97], v[14:15]
	v_mul_f64_e32 v[4:5], s[22:23], v[10:11]
	v_fma_f64 v[98:99], v[12:13], s[4:5], v[22:23]
	v_fma_f64 v[6:7], v[2:3], s[2:3], -v[22:23]
	v_mul_f64_e32 v[2:3], s[2:3], v[2:3]
	v_fma_f64 v[96:97], v[10:11], s[22:23], v[18:19]
	v_fma_f64 v[14:15], v[14:15], s[18:19], v[16:17]
	v_fma_f64 v[4:5], v[0:1], s[12:13], -v[4:5]
	v_fma_f64 v[0:1], v[0:1], s[14:15], -v[18:19]
	v_fma_f64 v[6:7], v[20:21], s[0:1], v[6:7]
	v_fma_f64 v[2:3], v[12:13], s[10:11], -v[2:3]
	v_fma_f64 v[98:99], v[20:21], s[0:1], v[98:99]
	v_add_f64_e32 v[96:97], v[96:97], v[14:15]
	v_add_f64_e32 v[4:5], v[4:5], v[14:15]
	;; [unrolled: 1-line block ×3, first 2 shown]
	v_fma_f64 v[2:3], v[20:21], s[0:1], v[2:3]
	s_delay_alu instid0(VALU_DEP_4) | instskip(NEXT) | instid1(VALU_DEP_4)
	v_add_f64_e64 v[100:101], v[96:97], -v[98:99]
	v_add_f64_e32 v[10:11], v[6:7], v[4:5]
	v_add_f64_e64 v[4:5], v[4:5], -v[6:7]
	s_delay_alu instid0(VALU_DEP_4)
	v_add_f64_e64 v[12:13], v[0:1], -v[2:3]
	v_add_f64_e32 v[0:1], v[2:3], v[0:1]
	v_add_f64_e32 v[2:3], v[120:121], v[110:111]
	ds_store_2addr_b64 v128, v[16:17], v[100:101] offset0:10 offset1:59
	ds_store_2addr_b64 v128, v[12:13], v[10:11] offset0:108 offset1:157
	;; [unrolled: 1-line block ×3, first 2 shown]
	v_add_f64_e32 v[0:1], v[118:119], v[112:113]
	ds_store_b64 v124, v[2:3] offset:10584
	v_add_f64_e32 v[2:3], v[104:105], v[102:103]
	ds_store_b64 v117, v[0:1] offset:7840
	;; [unrolled: 2-line block ×3, first 2 shown]
	ds_store_b64 v8, v[2:3] offset:16072
	v_add_f64_e32 v[0:1], v[98:99], v[96:97]
	ds_store_b64 v9, v[0:1] offset:18816
	global_wb scope:SCOPE_SE
	s_wait_storecnt_dscnt 0x0
	s_barrier_signal -1
	s_barrier_wait -1
	global_inv scope:SCOPE_SE
	s_and_saveexec_b32 s26, vcc_lo
	s_cbranch_execz .LBB0_15
; %bb.14:
	s_clause 0x1
	scratch_load_b32 v243, off, off offset:388 th:TH_LOAD_LU
	scratch_load_b32 v0, off, off offset:436 th:TH_LOAD_LU
	v_mov_b32_e32 v241, v58
	v_mov_b32_e32 v109, 0
	s_wait_loadcnt 0x1
	v_mul_u32_u24_e32 v4, 6, v243
	v_mad_u32_u24 v108, v243, 6, 0xfffffeda
	s_wait_loadcnt 0x0
	v_add_co_u32 v96, s26, s8, v0
	s_wait_alu 0xf1fe
	v_add_co_ci_u32_e64 v97, null, s9, 0, s26
	v_lshlrev_b32_e32 v124, 4, v4
	s_clause 0x1
	global_load_b128 v[4:7], v[96:97], off offset:5408
	global_load_b128 v[8:11], v124, s[8:9] offset:5392
	v_lshlrev_b64_e32 v[0:1], 4, v[108:109]
	v_mad_u32_u24 v108, v243, 6, 0xfffffdb4
	s_clause 0x1
	global_load_b128 v[12:15], v[96:97], off offset:5440
	global_load_b128 v[16:19], v124, s[8:9] offset:5424
	v_lshlrev_b64_e32 v[2:3], 4, v[108:109]
	v_add_co_u32 v0, vcc_lo, s8, v0
	s_wait_alu 0xfffd
	v_add_co_ci_u32_e32 v1, vcc_lo, s9, v1, vcc_lo
	v_mad_u32_u24 v108, v243, 6, 0xfffffc8e
	s_delay_alu instid0(VALU_DEP_4)
	v_add_co_u32 v2, vcc_lo, s8, v2
	s_wait_alu 0xfffd
	v_add_co_ci_u32_e32 v3, vcc_lo, s9, v3, vcc_lo
	s_clause 0x5
	global_load_b128 v[98:101], v124, s[8:9] offset:5376
	global_load_b128 v[102:105], v[0:1], off offset:5376
	global_load_b128 v[114:117], v124, s[8:9] offset:5440
	global_load_b128 v[118:121], v124, s[8:9] offset:5408
	global_load_b128 v[126:129], v[0:1], off offset:5440
	global_load_b128 v[130:133], v[0:1], off offset:5408
	scratch_load_b128 v[32:35], off, off offset:356 th:TH_LOAD_LU ; 16-byte Folded Reload
	s_clause 0x4
	global_load_b128 v[134:137], v[0:1], off offset:5456
	global_load_b128 v[138:141], v[2:3], off offset:5456
	;; [unrolled: 1-line block ×5, first 2 shown]
	v_lshlrev_b64_e32 v[0:1], 4, v[108:109]
	scratch_load_b128 v[210:213], off, off offset:412 th:TH_LOAD_LU ; 16-byte Folded Reload
	s_clause 0x2
	global_load_b128 v[154:157], v[2:3], off offset:5376
	global_load_b128 v[158:161], v[2:3], off offset:5424
	;; [unrolled: 1-line block ×3, first 2 shown]
	v_mad_u32_u24 v108, v243, 6, 0xfffffb68
	v_add_co_u32 v0, vcc_lo, s8, v0
	s_wait_alu 0xfffd
	v_add_co_ci_u32_e32 v1, vcc_lo, s9, v1, vcc_lo
	scratch_load_b128 v[245:248], off, off offset:372 th:TH_LOAD_LU ; 16-byte Folded Reload
	global_load_b128 v[166:169], v[2:3], off offset:5408
	scratch_load_b128 v[249:252], off, off offset:396 th:TH_LOAD_LU ; 16-byte Folded Reload
	s_clause 0x1
	global_load_b128 v[170:173], v[0:1], off offset:5376
	global_load_b128 v[174:177], v[0:1], off offset:5440
	scratch_load_b32 v2, off, off offset:172 th:TH_LOAD_LU ; 4-byte Folded Reload
	v_lshlrev_b64_e32 v[220:221], 4, v[108:109]
	v_mad_u32_u24 v108, v243, 6, 0xfffffa42
	s_wait_loadcnt 0x0
	ds_load_2addr_b64 v[178:181], v2 offset0:84 offset1:133
	global_load_b128 v[182:185], v[0:1], off offset:5408
	s_clause 0x1
	scratch_load_b32 v237, off, off offset:92 th:TH_LOAD_LU
	scratch_load_b32 v125, off, off offset:164 th:TH_LOAD_LU
	ds_load_2addr_b64 v[194:197], v58 offset0:76 offset1:125
	scratch_load_b128 v[206:209], off, off offset:244 th:TH_LOAD_LU ; 16-byte Folded Reload
	s_clause 0x1
	global_load_b128 v[190:193], v[96:97], off offset:5424
	global_load_b128 v[92:95], v[0:1], off offset:5456
	s_wait_dscnt 0x1
	v_mul_f64_e32 v[22:23], v[10:11], v[178:179]
	v_mul_f64_e32 v[106:107], v[8:9], v[178:179]
	;; [unrolled: 1-line block ×3, first 2 shown]
	s_wait_dscnt 0x0
	v_mul_f64_e32 v[204:205], v[100:101], v[196:197]
	v_mul_f64_e32 v[214:215], v[98:99], v[196:197]
	;; [unrolled: 1-line block ×5, first 2 shown]
	global_load_b128 v[178:181], v[96:97], off offset:5456
	v_fma_f64 v[22:23], v[53:54], v[8:9], -v[22:23]
	v_fma_f64 v[106:107], v[53:54], v[10:11], v[106:107]
	global_load_b128 v[8:11], v124, s[8:9] offset:5456
	v_fma_f64 v[222:223], v[55:56], v[4:5], -v[2:3]
	v_add_co_u32 v2, vcc_lo, s8, v220
	s_wait_alu 0xfffd
	v_add_co_ci_u32_e32 v3, vcc_lo, s9, v221, vcc_lo
	v_fma_f64 v[20:21], v[55:56], v[6:7], v[20:21]
	v_fma_f64 v[204:205], v[38:39], v[98:99], -v[204:205]
	v_fma_f64 v[214:215], v[38:39], v[100:101], v[214:215]
	v_fma_f64 v[216:217], v[36:37], v[102:103], -v[216:217]
	v_fma_f64 v[218:219], v[36:37], v[104:105], v[218:219]
	global_load_b128 v[78:81], v[2:3], off offset:5424
	s_wait_loadcnt 0x7
	ds_load_2addr_b64 v[186:189], v237 offset0:130 offset1:179
	s_wait_loadcnt 0x6
	ds_load_2addr_b64 v[194:197], v125 offset0:122 offset1:171
	scratch_load_b32 v125, off, off offset:52 th:TH_LOAD_LU ; 4-byte Folded Reload
	s_wait_dscnt 0x1
	v_mul_f64_e32 v[110:111], v[14:15], v[188:189]
	v_mul_f64_e32 v[112:113], v[12:13], v[188:189]
	;; [unrolled: 1-line block ×4, first 2 shown]
	ds_load_2addr_b64 v[186:189], v72 offset0:168 offset1:217
	s_wait_dscnt 0x1
	v_mul_f64_e32 v[226:227], v[132:133], v[194:195]
	v_mul_f64_e32 v[194:195], v[130:131], v[194:195]
	;; [unrolled: 1-line block ×4, first 2 shown]
	s_wait_dscnt 0x0
	v_mul_f64_e32 v[86:87], v[116:117], v[188:189]
	v_mul_f64_e32 v[188:189], v[114:115], v[188:189]
	;; [unrolled: 1-line block ×4, first 2 shown]
	v_fma_f64 v[110:111], v[46:47], v[12:13], -v[110:111]
	v_fma_f64 v[112:113], v[46:47], v[14:15], v[112:113]
	global_load_b128 v[12:15], v[0:1], off offset:5392
	scratch_load_b32 v124, off, off offset:76 th:TH_LOAD_LU ; 4-byte Folded Reload
	v_fma_f64 v[122:123], v[44:45], v[16:17], -v[122:123]
	v_fma_f64 v[198:199], v[44:45], v[18:19], v[198:199]
	global_load_b128 v[16:19], v[2:3], off offset:5456
	v_fma_f64 v[238:239], v[28:29], v[132:133], v[194:195]
	v_fma_f64 v[220:221], v[30:31], v[118:119], -v[220:221]
	v_fma_f64 v[196:197], v[30:31], v[120:121], v[196:197]
	v_fma_f64 v[226:227], v[28:29], v[130:131], -v[226:227]
	v_fma_f64 v[234:235], v[42:43], v[114:115], -v[86:87]
	v_fma_f64 v[188:189], v[42:43], v[116:117], v[188:189]
	v_fma_f64 v[224:225], v[40:41], v[126:127], -v[224:225]
	global_load_b128 v[86:89], v[0:1], off offset:5424
	v_fma_f64 v[186:187], v[40:41], v[128:129], v[186:187]
	s_wait_loadcnt 0x4
	ds_load_2addr_b64 v[4:7], v125 offset0:206 offset1:255
	s_wait_dscnt 0x0
	v_mul_f64_e32 v[90:91], v[136:137], v[6:7]
	v_mul_f64_e32 v[228:229], v[134:135], v[6:7]
	;; [unrolled: 1-line block ×4, first 2 shown]
	global_load_b128 v[4:7], v[2:3], off offset:5392
	v_fma_f64 v[134:135], v[26:27], v[134:135], -v[90:91]
	s_wait_loadcnt 0x3
	ds_load_2addr_b64 v[82:85], v124 offset0:114 offset1:163
	v_fma_f64 v[136:137], v[26:27], v[136:137], v[228:229]
	v_fma_f64 v[138:139], v[24:25], v[138:139], -v[230:231]
	v_fma_f64 v[140:141], v[24:25], v[140:141], v[232:233]
	s_wait_dscnt 0x0
	v_mul_f64_e32 v[0:1], v[144:145], v[84:85]
	v_mul_f64_e32 v[114:115], v[142:143], v[84:85]
	;; [unrolled: 1-line block ×4, first 2 shown]
	ds_load_2addr_b64 v[82:85], v237 offset0:32 offset1:81
	ds_load_2addr_b64 v[98:101], v57 offset0:106 offset1:155
	;; [unrolled: 1-line block ×3, first 2 shown]
	scratch_load_b32 v195, off, off offset:236 th:TH_LOAD_LU ; 4-byte Folded Reload
	s_wait_dscnt 0x1
	v_mul_f64_e32 v[118:119], v[156:157], v[100:101]
	v_mul_f64_e32 v[90:91], v[152:153], v[84:85]
	;; [unrolled: 1-line block ×6, first 2 shown]
	s_wait_dscnt 0x0
	v_mul_f64_e32 v[130:131], v[164:165], v[104:105]
	v_mul_f64_e32 v[104:105], v[162:163], v[104:105]
	v_mul_f64_e32 v[132:133], v[170:171], v[98:99]
	v_mul_f64_e32 v[228:229], v[176:177], v[102:103]
	v_mul_f64_e32 v[230:231], v[174:175], v[102:103]
	v_fma_f64 v[0:1], v[70:71], v[142:143], -v[0:1]
	v_fma_f64 v[142:143], v[70:71], v[144:145], v[114:115]
	v_fma_f64 v[146:147], v[68:69], v[146:147], -v[116:117]
	v_fma_f64 v[148:149], v[68:69], v[148:149], v[126:127]
	v_mul_f64_e32 v[126:127], v[172:173], v[98:99]
	s_clause 0x1
	global_load_b128 v[68:71], v[96:97], off offset:5376
	global_load_b128 v[114:117], v[2:3], off offset:5440
	v_fma_f64 v[154:155], v[62:63], v[154:155], -v[118:119]
	v_fma_f64 v[150:151], v[66:67], v[150:151], -v[90:91]
	v_lshlrev_b64_e32 v[90:91], 4, v[108:109]
	v_fma_f64 v[152:153], v[66:67], v[152:153], v[84:85]
	global_load_b128 v[82:85], v[2:3], off offset:5376
	v_fma_f64 v[158:159], v[64:65], v[158:159], -v[120:121]
	v_fma_f64 v[160:161], v[64:65], v[160:161], v[128:129]
	ds_load_2addr_b64 v[64:67], v125 offset0:108 offset1:157
	v_add_co_u32 v90, vcc_lo, s8, v90
	s_wait_alu 0xfffd
	v_add_co_ci_u32_e32 v91, vcc_lo, s9, v91, vcc_lo
	v_fma_f64 v[156:157], v[62:63], v[156:157], v[100:101]
	global_load_b128 v[100:103], v[2:3], off offset:5408
	v_fma_f64 v[162:163], v[50:51], v[162:163], -v[130:131]
	v_fma_f64 v[104:105], v[50:51], v[164:165], v[104:105]
	v_fma_f64 v[56:57], v[48:49], v[176:177], v[230:231]
	v_fma_f64 v[164:165], v[60:61], v[170:171], -v[126:127]
	v_fma_f64 v[170:171], v[60:61], v[172:173], v[132:133]
	v_fma_f64 v[172:173], v[48:49], v[174:175], -v[228:229]
	s_wait_dscnt 0x0
	v_mul_f64_e32 v[2:3], v[94:95], v[66:67]
	v_mul_f64_e32 v[66:67], v[92:93], v[66:67]
	s_wait_loadcnt 0x7
	v_mul_f64_e32 v[176:177], v[18:19], v[64:65]
	s_delay_alu instid0(VALU_DEP_3) | instskip(NEXT) | instid1(VALU_DEP_3)
	v_fma_f64 v[228:229], v[247:248], v[92:93], -v[2:3]
	v_fma_f64 v[50:51], v[247:248], v[94:95], v[66:67]
	s_delay_alu instid0(VALU_DEP_3)
	v_fma_f64 v[66:67], v[245:246], v[16:17], -v[176:177]
	s_wait_loadcnt 0x4
	ds_load_2addr_b64 v[74:77], v195 offset0:152 offset1:201
	s_wait_dscnt 0x0
	v_mul_f64_e32 v[232:233], v[184:185], v[74:75]
	v_mul_f64_e32 v[236:237], v[182:183], v[74:75]
	global_load_b128 v[72:75], v[96:97], off offset:5392
	ds_load_2addr_b64 v[96:99], v124 offset0:16 offset1:65
	s_clause 0x3
	global_load_b128 v[58:61], v[90:91], off offset:5392
	global_load_b128 v[118:121], v[90:91], off offset:5376
	;; [unrolled: 1-line block ×4, first 2 shown]
	scratch_load_b32 v194, off, off offset:36 th:TH_LOAD_LU ; 4-byte Folded Reload
	v_mul_f64_e32 v[144:145], v[168:169], v[76:77]
	v_mul_f64_e32 v[76:77], v[166:167], v[76:77]
	global_load_b128 v[52:55], v[90:91], off offset:5408
	scratch_load_b32 v108, off, off offset:428 th:TH_LOAD_LU ; 4-byte Folded Reload
	ds_load_2addr_b64 v[40:43], v244 offset0:136 offset1:185
	s_clause 0x1
	scratch_load_b128 v[28:31], off, off offset:308 th:TH_LOAD_LU
	scratch_load_b128 v[24:27], off, off offset:292 th:TH_LOAD_LU
	v_fma_f64 v[174:175], v[249:250], v[184:185], v[236:237]
	s_wait_dscnt 0x1
	v_mul_f64_e32 v[184:185], v[6:7], v[96:97]
	v_mul_f64_e32 v[96:97], v[4:5], v[96:97]
	v_fma_f64 v[144:145], v[251:252], v[166:167], -v[144:145]
	v_mul_f64_e32 v[166:167], v[14:15], v[98:99]
	v_mul_f64_e32 v[98:99], v[12:13], v[98:99]
	v_fma_f64 v[76:77], v[251:252], v[168:169], v[76:77]
	v_fma_f64 v[168:169], v[249:250], v[182:183], -v[232:233]
	v_mul_f64_e32 v[182:183], v[16:17], v[64:65]
	global_load_b128 v[62:65], v[90:91], off offset:5424
	v_fma_f64 v[44:45], v[210:211], v[6:7], v[96:97]
	v_fma_f64 v[46:47], v[212:213], v[14:15], v[98:99]
	v_fma_f64 v[98:99], v[210:211], v[4:5], -v[184:185]
	ds_load_2addr_b64 v[4:7], v241 offset0:174 offset1:223
	scratch_load_b128 v[240:243], off, off offset:212 th:TH_LOAD_LU ; 16-byte Folded Reload
	v_fma_f64 v[48:49], v[245:246], v[18:19], v[182:183]
	ds_load_2addr_b64 v[16:19], v125 offset0:10 offset1:59
	v_fma_f64 v[124:125], v[212:213], v[12:13], -v[166:167]
	ds_load_2addr_b64 v[12:15], v244 offset0:38 offset1:87
	scratch_load_b128 v[210:213], off, off offset:276 th:TH_LOAD_LU ; 16-byte Folded Reload
	s_wait_dscnt 0x1
	v_mul_f64_e32 v[96:97], v[180:181], v[16:17]
	v_mul_f64_e32 v[166:167], v[178:179], v[16:17]
	s_wait_loadcnt 0xb
	v_mul_f64_e32 v[182:183], v[60:61], v[6:7]
	v_mul_f64_e32 v[184:185], v[58:59], v[6:7]
	s_wait_loadcnt 0x7
	ds_load_2addr_b64 v[90:93], v194 offset0:190 offset1:239
	s_wait_loadcnt 0x5
	ds_load_b64 v[176:177], v108 offset:18816
	s_wait_dscnt 0x1
	v_mul_f64_e32 v[2:3], v[88:89], v[92:93]
	v_mul_f64_e32 v[92:93], v[86:87], v[92:93]
	;; [unrolled: 1-line block ×4, first 2 shown]
	s_delay_alu instid0(VALU_DEP_4) | instskip(NEXT) | instid1(VALU_DEP_4)
	v_fma_f64 v[86:87], v[34:35], v[86:87], -v[2:3]
	v_fma_f64 v[88:89], v[34:35], v[88:89], v[92:93]
	v_mul_f64_e32 v[2:3], v[70:71], v[14:15]
	v_fma_f64 v[78:79], v[32:33], v[78:79], -v[94:95]
	v_fma_f64 v[80:81], v[32:33], v[80:81], v[90:91]
	scratch_load_b128 v[32:35], off, off offset:324 th:TH_LOAD_LU ; 16-byte Folded Reload
	v_mul_f64_e32 v[92:93], v[68:69], v[14:15]
	v_mul_f64_e32 v[90:91], v[74:75], v[4:5]
	;; [unrolled: 1-line block ×3, first 2 shown]
	ds_load_2addr_b64 v[14:17], v194 offset0:92 offset1:141
	s_wait_loadcnt 0x2
	v_fma_f64 v[68:69], v[242:243], v[68:69], -v[2:3]
	scratch_load_b64 v[2:3], off, off offset:228 th:TH_LOAD_LU ; 8-byte Folded Reload
	v_fma_f64 v[70:71], v[242:243], v[70:71], v[92:93]
	s_wait_dscnt 0x0
	v_mul_f64_e32 v[92:93], v[192:193], v[14:15]
	v_mul_f64_e32 v[14:15], v[190:191], v[14:15]
	s_delay_alu instid0(VALU_DEP_2) | instskip(NEXT) | instid1(VALU_DEP_2)
	v_fma_f64 v[92:93], v[206:207], v[190:191], -v[92:93]
	v_fma_f64 v[14:15], v[206:207], v[192:193], v[14:15]
	v_mul_f64_e32 v[206:207], v[64:65], v[16:17]
	v_mul_f64_e32 v[16:17], v[62:63], v[16:17]
	s_delay_alu instid0(VALU_DEP_2) | instskip(NEXT) | instid1(VALU_DEP_2)
	v_fma_f64 v[62:63], v[208:209], v[62:63], -v[206:207]
	v_fma_f64 v[16:17], v[208:209], v[64:65], v[16:17]
	v_add_f64_e32 v[64:65], v[122:123], v[220:221]
	s_wait_loadcnt 0x1
	v_fma_f64 v[94:95], v[32:33], v[178:179], -v[96:97]
	v_mul_f64_e32 v[96:97], v[10:11], v[176:177]
	v_fma_f64 v[32:33], v[32:33], v[180:181], v[166:167]
	v_mul_f64_e32 v[166:167], v[8:9], v[176:177]
	s_wait_loadcnt 0x0
	s_delay_alu instid0(VALU_DEP_3)
	v_fma_f64 v[96:97], v[2:3], v[8:9], -v[96:97]
	scratch_load_b32 v8, off, off offset:20 th:TH_LOAD_LU ; 4-byte Folded Reload
	v_fma_f64 v[74:75], v[210:211], v[74:75], v[4:5]
	v_fma_f64 v[166:167], v[2:3], v[10:11], v[166:167]
	ds_load_2addr_b64 v[2:5], v195 offset0:54 offset1:103
	v_mad_co_u64_u32 v[194:195], null, s24, v202, 0
	v_fma_f64 v[72:73], v[210:211], v[72:73], -v[90:91]
	v_mul_f64_e32 v[90:91], v[84:85], v[42:43]
	v_mul_f64_e32 v[42:43], v[82:83], v[42:43]
	v_fma_f64 v[36:37], v[212:213], v[60:61], v[184:185]
	v_fma_f64 v[58:59], v[212:213], v[58:59], -v[182:183]
	v_add_f64_e32 v[182:183], v[156:157], v[140:141]
	v_add_f64_e32 v[184:185], v[148:149], v[104:105]
	v_add_f64_e64 v[140:141], v[156:157], -v[140:141]
	v_add_f64_e64 v[156:157], v[124:125], -v[172:173]
	v_add_f64_e32 v[124:125], v[124:125], v[172:173]
	v_add_f64_e64 v[104:105], v[148:149], -v[104:105]
	v_add_f64_e64 v[148:149], v[164:165], -v[228:229]
	v_add_f64_e32 v[164:165], v[164:165], v[228:229]
	s_wait_dscnt 0x0
	v_mul_f64_e32 v[176:177], v[102:103], v[4:5]
	v_mul_f64_e32 v[190:191], v[100:101], v[4:5]
	v_mul_lo_u32 v4, s25, v202
	v_mul_lo_u32 v5, s24, v203
	v_mul_f64_e32 v[192:193], v[54:55], v[2:3]
	v_mul_f64_e32 v[2:3], v[52:53], v[2:3]
	s_delay_alu instid0(VALU_DEP_3)
	v_add3_u32 v195, v195, v5, v4
	scratch_load_b128 v[4:7], off, off offset:340 th:TH_LOAD_LU ; 16-byte Folded Reload
	v_add_f64_e32 v[60:61], v[204:205], v[96:97]
	v_fma_f64 v[82:83], v[30:31], v[82:83], -v[90:91]
	v_fma_f64 v[30:31], v[30:31], v[84:85], v[42:43]
	v_mul_f64_e32 v[42:43], v[128:129], v[18:19]
	v_mul_f64_e32 v[18:19], v[126:127], v[18:19]
	;; [unrolled: 1-line block ×4, first 2 shown]
	v_add_f64_e32 v[236:237], v[164:165], v[124:125]
	v_fma_f64 v[38:39], v[26:27], v[100:101], -v[176:177]
	v_fma_f64 v[26:27], v[26:27], v[102:103], v[190:191]
	v_add_f64_e64 v[102:103], v[92:93], -v[222:223]
	v_add_f64_e64 v[176:177], v[14:15], -v[20:21]
	v_fma_f64 v[52:53], v[24:25], v[52:53], -v[192:193]
	v_fma_f64 v[2:3], v[24:25], v[54:55], v[2:3]
	v_add_f64_e64 v[24:25], v[22:23], -v[234:235]
	v_add_f64_e32 v[22:23], v[22:23], v[234:235]
	v_add_f64_e32 v[54:55], v[198:199], v[196:197]
	v_fma_f64 v[42:43], v[34:35], v[126:127], -v[42:43]
	v_fma_f64 v[18:19], v[34:35], v[128:129], v[18:19]
	v_fma_f64 v[84:85], v[28:29], v[118:119], -v[84:85]
	v_fma_f64 v[28:29], v[28:29], v[120:121], v[40:41]
	v_add_f64_e32 v[118:119], v[70:71], v[32:33]
	v_add_f64_e32 v[126:127], v[14:15], v[20:21]
	;; [unrolled: 1-line block ×3, first 2 shown]
	v_add_f64_e64 v[14:15], v[122:123], -v[220:221]
	v_add_f64_e32 v[40:41], v[106:107], v[188:189]
	v_add_f64_e32 v[120:121], v[74:75], v[112:113]
	v_add_f64_e64 v[20:21], v[204:205], -v[96:97]
	v_add_f64_e32 v[96:97], v[218:219], v[136:137]
	v_add_f64_e32 v[122:123], v[216:217], v[134:135]
	;; [unrolled: 3-line block ×3, first 2 shown]
	v_add_f64_e32 v[206:207], v[16:17], v[2:3]
	v_add_f64_e64 v[100:101], v[84:85], -v[42:43]
	v_add_f64_e32 v[202:203], v[28:29], v[18:19]
	v_add_f64_e32 v[208:209], v[84:85], v[42:43]
	s_wait_loadcnt 0x1
	ds_load_2addr_b64 v[8:11], v8 offset0:100 offset1:149
	s_wait_dscnt 0x0
	v_mul_f64_e32 v[178:179], v[116:117], v[10:11]
	v_mul_f64_e32 v[10:11], v[114:115], v[10:11]
	;; [unrolled: 1-line block ×4, first 2 shown]
	s_wait_loadcnt 0x0
	s_delay_alu instid0(VALU_DEP_4) | instskip(NEXT) | instid1(VALU_DEP_4)
	v_fma_f64 v[114:115], v[6:7], v[114:115], -v[178:179]
	v_fma_f64 v[10:11], v[6:7], v[116:117], v[10:11]
	s_delay_alu instid0(VALU_DEP_4) | instskip(NEXT) | instid1(VALU_DEP_4)
	v_fma_f64 v[90:91], v[4:5], v[130:131], -v[90:91]
	v_fma_f64 v[34:35], v[4:5], v[132:133], v[180:181]
	v_add_f64_e64 v[4:5], v[68:69], -v[94:95]
	v_add_f64_e64 v[116:117], v[72:73], -v[110:111]
	v_add_f64_e32 v[130:131], v[72:73], v[110:111]
	v_add_f64_e32 v[110:111], v[92:93], v[222:223]
	v_add_f64_e64 v[132:133], v[70:71], -v[32:33]
	v_add_f64_e32 v[32:33], v[214:215], v[166:167]
	v_add_f64_e64 v[92:93], v[150:151], -v[226:227]
	v_add_f64_e64 v[94:95], v[0:1], -v[224:225]
	;; [unrolled: 1-line block ×7, first 2 shown]
	v_add_f64_e32 v[106:107], v[142:143], v[186:187]
	v_add_f64_e32 v[112:113], v[152:153], v[238:239]
	;; [unrolled: 1-line block ×4, first 2 shown]
	v_add_f64_e64 v[150:151], v[152:153], -v[238:239]
	v_add_f64_e64 v[142:143], v[142:143], -v[186:187]
	;; [unrolled: 1-line block ×5, first 2 shown]
	v_add_f64_e32 v[186:187], v[160:161], v[76:77]
	v_add_f64_e32 v[138:139], v[154:155], v[138:139]
	;; [unrolled: 1-line block ×4, first 2 shown]
	v_add_f64_e64 v[76:77], v[160:161], -v[76:77]
	v_add_f64_e64 v[154:155], v[86:87], -v[168:169]
	v_add_f64_e32 v[158:159], v[170:171], v[50:51]
	v_add_f64_e32 v[160:161], v[46:47], v[56:57]
	;; [unrolled: 1-line block ×4, first 2 shown]
	v_add_f64_e64 v[50:51], v[170:171], -v[50:51]
	v_add_f64_e64 v[88:89], v[88:89], -v[174:175]
	;; [unrolled: 1-line block ×6, first 2 shown]
	v_add_f64_e32 v[174:175], v[60:61], v[22:23]
	v_add_f64_e32 v[188:189], v[30:31], v[48:49]
	;; [unrolled: 1-line block ×4, first 2 shown]
	v_add_f64_e64 v[98:99], v[30:31], -v[48:49]
	v_add_f64_e32 v[172:173], v[32:33], v[40:41]
	v_add_f64_e32 v[204:205], v[36:37], v[34:35]
	v_add_f64_e64 v[214:215], v[28:29], -v[18:19]
	v_add_f64_e64 v[218:219], v[36:37], -v[34:35]
	v_add_f64_e32 v[18:19], v[14:15], v[24:25]
	v_add_f64_e64 v[30:31], v[60:61], -v[64:65]
	v_add_f64_e64 v[34:35], v[64:65], -v[22:23]
	;; [unrolled: 1-line block ×3, first 2 shown]
	v_add_f64_e32 v[60:61], v[92:93], v[94:95]
	v_add_f64_e32 v[190:191], v[44:45], v[10:11]
	;; [unrolled: 1-line block ×3, first 2 shown]
	v_add_f64_e64 v[114:115], v[80:81], -v[26:27]
	v_add_f64_e64 v[10:11], v[44:45], -v[10:11]
	;; [unrolled: 1-line block ×4, first 2 shown]
	v_add_f64_e32 v[210:211], v[58:59], v[90:91]
	v_add_f64_e64 v[216:217], v[16:17], -v[2:3]
	v_add_f64_e64 v[2:3], v[20:21], -v[14:15]
	;; [unrolled: 1-line block ×7, first 2 shown]
	v_add_f64_e32 v[44:45], v[70:71], v[72:73]
	v_add_f64_e64 v[24:25], v[24:25], -v[20:21]
	v_add_f64_e64 v[32:33], v[40:41], -v[32:33]
	v_add_f64_e64 v[40:41], v[72:73], -v[68:69]
	v_add_f64_e64 v[48:49], v[74:75], -v[92:93]
	v_add_f64_e64 v[58:59], v[92:93], -v[94:95]
	v_add_f64_e32 v[62:63], v[96:97], v[106:107]
	v_add_f64_e64 v[70:71], v[112:113], -v[106:107]
	v_add_f64_e32 v[72:73], v[122:123], v[0:1]
	v_add_f64_e64 v[78:79], v[122:123], -v[134:135]
	v_add_f64_e64 v[80:81], v[134:135], -v[0:1]
	v_add_f64_e64 v[84:85], v[136:137], -v[150:151]
	v_add_f64_e64 v[90:91], v[150:151], -v[142:143]
	v_add_f64_e32 v[92:93], v[150:151], v[142:143]
	v_add_f64_e64 v[94:95], v[94:95], -v[74:75]
	v_add_f64_e32 v[52:53], v[54:55], v[172:173]
	v_add_f64_e32 v[54:55], v[64:65], v[174:175]
	v_add_f64_e64 v[64:65], v[96:97], -v[112:113]
	v_add_f64_e64 v[96:97], v[106:107], -v[96:97]
	v_add_f64_e64 v[0:1], v[0:1], -v[122:123]
	v_add_f64_e64 v[106:107], v[142:143], -v[136:137]
	v_add_f64_e64 v[122:123], v[152:153], -v[166:167]
	v_add_f64_e64 v[142:143], v[166:167], -v[180:181]
	v_add_f64_e32 v[150:151], v[166:167], v[180:181]
	v_add_f64_e32 v[166:167], v[182:183], v[184:185]
	;; [unrolled: 1-line block ×6, first 2 shown]
	v_add_f64_e64 v[172:173], v[182:183], -v[186:187]
	v_add_f64_e64 v[174:175], v[186:187], -v[184:185]
	;; [unrolled: 1-line block ×4, first 2 shown]
	v_mul_f64_e32 v[16:17], s[20:21], v[16:17]
	v_add_f64_e32 v[220:221], v[138:139], v[146:147]
	v_add_f64_e64 v[222:223], v[138:139], -v[144:145]
	v_add_f64_e64 v[182:183], v[184:185], -v[182:183]
	;; [unrolled: 1-line block ×3, first 2 shown]
	v_add_f64_e32 v[44:45], v[68:69], v[44:45]
	v_add_f64_e64 v[68:69], v[50:51], -v[88:89]
	v_add_f64_e64 v[88:89], v[88:89], -v[46:47]
	;; [unrolled: 1-line block ×5, first 2 shown]
	v_add_f64_e32 v[154:155], v[154:155], v[156:157]
	v_add_f64_e64 v[228:229], v[76:77], -v[104:105]
	v_add_f64_e32 v[72:73], v[134:135], v[72:73]
	v_add_f64_e32 v[134:135], v[66:67], v[82:83]
	;; [unrolled: 1-line block ×6, first 2 shown]
	v_mul_f64_e32 v[92:93], s[16:17], v[26:27]
	v_add_f64_e32 v[14:15], v[12:13], v[52:53]
	v_add_f64_e32 v[12:13], v[240:241], v[54:55]
	v_add_f64_e64 v[156:157], v[156:157], -v[148:149]
	v_mul_f64_e32 v[42:43], s[20:21], v[42:43]
	ds_load_2addr_b64 v[6:9], v108 offset0:196 offset1:245
	v_add_f64_e64 v[232:233], v[158:159], -v[162:163]
	v_add_f64_e64 v[234:235], v[162:163], -v[160:161]
	;; [unrolled: 1-line block ×3, first 2 shown]
	v_add_f64_e32 v[76:77], v[76:77], v[104:105]
	v_add_f64_e32 v[166:167], v[186:187], v[166:167]
	v_mul_f64_e32 v[186:187], s[2:3], v[24:25]
	v_add_f64_e32 v[240:241], v[50:51], v[20:21]
	v_mul_f64_e32 v[50:51], s[20:21], v[58:59]
	v_mul_f64_e32 v[58:59], s[22:23], v[80:81]
	v_add_f64_e32 v[242:243], v[56:57], v[60:61]
	v_mul_f64_e32 v[60:61], s[16:17], v[78:79]
	v_add_f64_e64 v[80:81], v[38:39], -v[82:83]
	v_mul_f64_e32 v[82:83], s[20:21], v[142:143]
	v_add_f64_e64 v[104:105], v[104:105], -v[140:141]
	v_add_f64_e32 v[144:145], v[144:145], v[220:221]
	v_add_f64_e64 v[220:221], v[188:189], -v[192:193]
	v_add_f64_e64 v[188:189], v[190:191], -v[188:189]
	;; [unrolled: 1-line block ×3, first 2 shown]
	v_mul_f64_e32 v[28:29], s[22:23], v[28:29]
	v_mul_f64_e32 v[34:35], s[22:23], v[34:35]
	v_add_f64_e64 v[180:181], v[180:181], -v[152:153]
	v_mul_f64_e32 v[20:21], s[2:3], v[94:95]
	scratch_store_b64 off, v[4:5], off offset:20 ; 8-byte Folded Spill
	v_add_f64_e64 v[158:159], v[160:161], -v[158:159]
	v_add_f64_e32 v[148:149], v[148:149], v[154:155]
	v_mul_f64_e32 v[154:155], s[2:3], v[40:41]
	v_add_f64_e64 v[160:161], v[164:165], -v[86:87]
	v_add_f64_e32 v[134:135], v[38:39], v[134:135]
	v_add_f64_e32 v[162:163], v[162:163], v[230:231]
	v_add_f64_e64 v[230:231], v[66:67], -v[38:39]
	v_mul_f64_e32 v[66:67], s[20:21], v[90:91]
	v_add_f64_e32 v[192:193], v[192:193], v[62:63]
	v_fma_f64 v[142:143], v[32:33], s[14:15], -v[92:93]
	v_mul_f64_e32 v[92:93], s[22:23], v[224:225]
	v_fma_f64 v[224:225], v[2:3], s[4:5], v[16:17]
	v_mul_f64_e32 v[90:91], s[22:23], v[174:175]
	v_mul_f64_e32 v[174:175], s[20:21], v[228:229]
	v_fma_f64 v[228:229], v[40:41], s[2:3], -v[42:43]
	v_mul_f64_e32 v[38:39], s[16:17], v[172:173]
	v_add_f64_e64 v[164:165], v[124:125], -v[164:165]
	v_add_f64_e64 v[124:125], v[86:87], -v[124:125]
	v_add_f64_e32 v[76:77], v[140:141], v[76:77]
	s_wait_dscnt 0x0
	v_add_f64_e32 v[62:63], v[6:7], v[166:167]
	v_fma_f64 v[186:187], v[2:3], s[10:11], -v[186:187]
	v_mul_f64_e32 v[140:141], s[16:17], v[30:31]
	v_add_f64_e32 v[150:151], v[152:153], v[150:151]
	v_fma_f64 v[78:79], v[78:79], s[16:17], v[58:59]
	v_fma_f64 v[58:59], v[0:1], s[12:13], -v[58:59]
	v_fma_f64 v[250:251], v[0:1], s[14:15], -v[60:61]
	scratch_load_b128 v[0:3], off, off offset:196 th:TH_LOAD_LU ; 16-byte Folded Reload
	v_add_f64_e64 v[152:153], v[56:57], -v[168:169]
	v_add_f64_e64 v[168:169], v[168:169], -v[170:171]
	v_add_f64_e32 v[86:87], v[86:87], v[236:237]
	v_mul_f64_e32 v[236:237], s[16:17], v[64:65]
	v_add_f64_e64 v[170:171], v[170:171], -v[56:57]
	v_mul_f64_e32 v[56:57], s[2:3], v[106:107]
	v_fma_f64 v[26:27], v[26:27], s[16:17], v[28:29]
	v_fma_f64 v[28:29], v[32:33], s[12:13], -v[28:29]
	v_mul_f64_e32 v[32:33], s[16:17], v[222:223]
	v_fma_f64 v[16:17], v[24:25], s[2:3], -v[16:17]
	v_fma_f64 v[30:31], v[30:31], s[16:17], v[34:35]
	v_mul_f64_e32 v[244:245], s[16:17], v[232:233]
	v_mul_f64_e32 v[234:235], s[22:23], v[234:235]
	v_fma_f64 v[154:155], v[36:37], s[10:11], -v[154:155]
	v_fma_f64 v[36:37], v[36:37], s[4:5], v[42:43]
	v_add_f64_e32 v[42:43], v[8:9], v[112:113]
	scratch_load_b128 v[6:9], off, off offset:180 th:TH_LOAD_LU ; 16-byte Folded Reload
	v_mul_f64_e32 v[88:89], s[20:21], v[88:89]
	v_mul_f64_e32 v[70:71], s[22:23], v[70:71]
	;; [unrolled: 1-line block ×3, first 2 shown]
	v_fma_f64 v[20:21], v[48:49], s[10:11], -v[20:21]
	v_fma_f64 v[48:49], v[48:49], s[4:5], v[50:51]
	v_fma_f64 v[50:51], v[94:95], s[2:3], -v[50:51]
	v_fma_f64 v[4:5], v[172:173], s[16:17], v[90:91]
	v_fma_f64 v[54:55], v[54:55], s[18:19], v[12:13]
	v_mul_f64_e32 v[184:185], s[20:21], v[184:185]
	v_fma_f64 v[254:255], v[182:183], s[14:15], -v[38:39]
	v_fma_f64 v[38:39], v[182:183], s[12:13], -v[90:91]
	v_mul_f64_e32 v[90:91], s[2:3], v[46:47]
	v_mul_f64_e32 v[246:247], s[2:3], v[156:157]
	v_fma_f64 v[172:173], v[226:227], s[4:5], v[174:175]
	v_mul_f64_e32 v[124:125], s[22:23], v[124:125]
	v_fma_f64 v[140:141], v[22:23], s[14:15], -v[140:141]
	v_fma_f64 v[22:23], v[22:23], s[12:13], -v[34:35]
	v_mul_f64_e32 v[34:35], s[2:3], v[104:105]
	v_fma_f64 v[104:105], v[104:105], s[2:3], -v[174:175]
	v_add_f64_e32 v[174:175], v[118:119], v[120:121]
	v_add_f64_e32 v[182:183], v[128:129], v[130:131]
	v_mul_f64_e32 v[190:191], s[22:23], v[190:191]
	v_fma_f64 v[236:237], v[96:97], s[14:15], -v[236:237]
	v_fma_f64 v[56:57], v[84:85], s[10:11], -v[56:57]
	v_fma_f64 v[84:85], v[84:85], s[4:5], v[66:67]
	v_fma_f64 v[66:67], v[106:107], s[2:3], -v[66:67]
	v_fma_f64 v[106:107], v[122:123], s[4:5], v[82:83]
	v_fma_f64 v[32:33], v[138:139], s[14:15], -v[32:33]
	v_fma_f64 v[82:83], v[180:181], s[2:3], -v[82:83]
	v_fma_f64 v[138:139], v[138:139], s[12:13], -v[92:93]
	v_fma_f64 v[180:181], v[158:159], s[14:15], -v[244:245]
	v_fma_f64 v[158:159], v[158:159], s[12:13], -v[234:235]
	v_fma_f64 v[36:37], v[44:45], s[0:1], v[36:37]
	v_fma_f64 v[112:113], v[112:113], s[18:19], v[42:43]
	v_add_f64_e64 v[244:245], v[196:197], -v[198:199]
	v_fma_f64 v[64:65], v[64:65], s[16:17], v[70:71]
	v_fma_f64 v[70:71], v[96:97], s[12:13], -v[70:71]
	v_fma_f64 v[24:25], v[122:123], s[10:11], -v[24:25]
	v_fma_f64 v[122:123], v[222:223], s[16:17], v[92:93]
	v_mul_f64_e32 v[96:97], s[16:17], v[160:161]
	v_fma_f64 v[156:157], v[156:157], s[2:3], -v[184:185]
	v_fma_f64 v[222:223], v[146:147], s[10:11], -v[246:247]
	v_fma_f64 v[146:147], v[146:147], s[4:5], v[184:185]
	v_fma_f64 v[172:173], v[76:77], s[0:1], v[172:173]
	v_add_f64_e64 v[184:185], v[114:115], -v[10:11]
	v_fma_f64 v[160:161], v[160:161], s[16:17], v[124:125]
	v_fma_f64 v[34:35], v[226:227], s[10:11], -v[34:35]
	v_fma_f64 v[226:227], v[68:69], s[10:11], -v[90:91]
	v_fma_f64 v[90:91], v[44:45], s[0:1], v[154:155]
	v_fma_f64 v[154:155], v[74:75], s[0:1], v[48:49]
	;; [unrolled: 1-line block ×3, first 2 shown]
	v_mul_f64_e32 v[228:229], s[22:23], v[80:81]
	v_fma_f64 v[104:105], v[76:77], s[0:1], v[104:105]
	v_fma_f64 v[124:125], v[164:165], s[12:13], -v[124:125]
	v_add_f64_e32 v[174:175], v[126:127], v[174:175]
	v_fma_f64 v[56:57], v[136:137], s[0:1], v[56:57]
	v_fma_f64 v[84:85], v[136:137], s[0:1], v[84:85]
	;; [unrolled: 1-line block ×4, first 2 shown]
	v_add_f64_e32 v[182:183], v[110:111], v[182:183]
	v_fma_f64 v[82:83], v[150:151], s[0:1], v[82:83]
	v_mul_f64_e32 v[136:137], s[16:17], v[230:231]
	v_add_f64_e32 v[80:81], v[236:237], v[112:113]
	v_add_f64_e32 v[64:65], v[64:65], v[112:113]
	v_fma_f64 v[96:97], v[164:165], s[14:15], -v[96:97]
	v_add_f64_e32 v[164:165], v[114:115], v[10:11]
	v_add_f64_e64 v[10:11], v[10:11], -v[98:99]
	v_add_f64_e64 v[114:115], v[98:99], -v[114:115]
	v_fma_f64 v[222:223], v[148:149], s[0:1], v[222:223]
	v_fma_f64 v[146:147], v[148:149], s[0:1], v[146:147]
	;; [unrolled: 1-line block ×5, first 2 shown]
	v_fma_f64 v[228:229], v[238:239], s[12:13], -v[228:229]
	v_fma_f64 v[136:137], v[238:239], s[14:15], -v[136:137]
	v_mul_f64_e32 v[238:239], s[20:21], v[244:245]
	v_add_f64_e32 v[98:99], v[98:99], v[164:165]
	v_add_f64_e64 v[164:165], v[208:209], -v[212:213]
	s_wait_loadcnt 0x1
	v_add_f64_e32 v[40:41], v[2:3], v[72:73]
	v_add_f64_e32 v[60:61], v[0:1], v[144:145]
	ds_load_2addr_b64 v[0:3], v108 offset0:98 offset1:147
	s_wait_loadcnt 0x0
	v_add_f64_e32 v[92:93], v[8:9], v[86:87]
	scratch_load_b32 v8, off, off offset:16 th:TH_LOAD_LU ; 4-byte Folded Reload
	s_wait_dscnt 0x0
	v_add_f64_e32 v[94:95], v[2:3], v[162:163]
	v_fma_f64 v[2:3], v[52:53], s[18:19], v[14:15]
	v_fma_f64 v[52:53], v[232:233], s[16:17], v[234:235]
	;; [unrolled: 1-line block ×3, first 2 shown]
	v_fma_f64 v[234:235], v[46:47], s[2:3], -v[88:89]
	v_fma_f64 v[46:47], v[18:19], s[0:1], v[224:225]
	v_fma_f64 v[68:69], v[18:19], s[0:1], v[186:187]
	;; [unrolled: 1-line block ×6, first 2 shown]
	v_add_f64_e32 v[186:187], v[202:203], v[204:205]
	v_add_f64_e32 v[224:225], v[208:209], v[210:211]
	;; [unrolled: 1-line block ×3, first 2 shown]
	v_add_f64_e64 v[208:209], v[210:211], -v[208:209]
	v_fma_f64 v[72:73], v[72:73], s[18:19], v[40:41]
	v_fma_f64 v[18:19], v[144:145], s[18:19], v[60:61]
	v_add_f64_e64 v[144:145], v[206:207], -v[204:205]
	v_fma_f64 v[20:21], v[162:163], s[18:19], v[94:95]
	v_add_f64_e32 v[48:49], v[26:27], v[2:3]
	v_mul_f64_e32 v[162:163], s[20:21], v[168:169]
	v_add_f64_e32 v[168:169], v[30:31], v[54:55]
	v_add_f64_e32 v[50:51], v[142:143], v[2:3]
	;; [unrolled: 1-line block ×9, first 2 shown]
	v_mul_f64_e32 v[140:141], s[16:17], v[220:221]
	v_mul_f64_e32 v[112:113], s[2:3], v[170:171]
	v_add_f64_e64 v[142:143], v[198:199], -v[100:101]
	v_fma_f64 v[192:193], v[192:193], s[18:19], v[106:107]
	v_add_f64_e32 v[58:59], v[58:59], v[72:73]
	v_add_f64_e32 v[138:139], v[138:139], v[18:19]
	;; [unrolled: 1-line block ×4, first 2 shown]
	v_fma_f64 v[250:251], v[150:151], s[0:1], v[24:25]
	v_add_f64_e32 v[150:151], v[4:5], v[16:17]
	v_add_f64_e32 v[122:123], v[122:123], v[18:19]
	;; [unrolled: 1-line block ×3, first 2 shown]
	v_fma_f64 v[4:5], v[86:87], s[18:19], v[92:93]
	v_mul_f64_e32 v[144:145], s[22:23], v[144:145]
	v_add_f64_e32 v[156:157], v[52:53], v[20:21]
	v_add_f64_e32 v[18:19], v[46:47], v[48:49]
	v_add_f64_e64 v[34:35], v[48:49], -v[46:47]
	v_add_f64_e64 v[16:17], v[168:169], -v[36:37]
	v_add_f64_e32 v[46:47], v[166:167], v[80:81]
	v_add_f64_e32 v[180:181], v[180:181], v[20:21]
	;; [unrolled: 1-line block ×4, first 2 shown]
	v_add_f64_e64 v[24:25], v[30:31], -v[44:45]
	v_add_f64_e64 v[30:31], v[50:51], -v[68:69]
	v_add_f64_e32 v[32:33], v[36:37], v[168:169]
	v_add_f64_e64 v[22:23], v[26:27], -v[88:89]
	v_add_f64_e32 v[26:27], v[88:89], v[26:27]
	v_add_f64_e32 v[168:169], v[206:207], v[186:187]
	;; [unrolled: 1-line block ×3, first 2 shown]
	v_fma_f64 v[140:141], v[188:189], s[14:15], -v[140:141]
	v_add_f64_e32 v[48:49], v[66:67], v[58:59]
	v_add_f64_e64 v[52:53], v[58:59], -v[66:67]
	v_add_f64_e64 v[58:59], v[80:81], -v[166:167]
	v_add_f64_e32 v[76:77], v[104:105], v[138:139]
	v_add_f64_e64 v[80:81], v[138:139], -v[104:105]
	v_add_f64_e32 v[104:105], v[6:7], v[134:135]
	scratch_load_b64 v[6:7], off, off offset:20 th:TH_LOAD_LU ; 8-byte Folded Reload
	v_add_f64_e64 v[36:37], v[78:79], -v[84:85]
	v_add_f64_e64 v[66:67], v[64:65], -v[154:155]
	v_add_f64_e32 v[64:65], v[84:85], v[78:79]
	v_add_f64_e64 v[72:73], v[248:249], -v[252:253]
	v_add_f64_e64 v[86:87], v[254:255], -v[250:251]
	v_add_f64_e32 v[84:85], v[252:253], v[248:249]
	v_add_f64_e32 v[70:71], v[246:247], v[150:151]
	v_add_f64_e32 v[88:89], v[172:173], v[122:123]
	v_mul_f64_e32 v[138:139], s[2:3], v[10:11]
	v_fma_f64 v[154:155], v[220:221], s[16:17], v[190:191]
	v_add_f64_e32 v[166:167], v[196:197], v[198:199]
	v_add_f64_e64 v[198:199], v[218:219], -v[214:215]
	v_add_f64_e64 v[220:221], v[126:127], -v[120:121]
	;; [unrolled: 1-line block ×3, first 2 shown]
	v_fma_f64 v[188:189], v[188:189], s[12:13], -v[190:191]
	v_add_f64_e64 v[190:191], v[176:177], -v[178:179]
	v_add_f64_e64 v[44:45], v[236:237], -v[56:57]
	v_add_f64_e32 v[56:57], v[56:57], v[236:237]
	scratch_store_b128 off, v[16:19], off   ; 16-byte Folded Spill
	v_add_f64_e32 v[18:19], v[68:69], v[50:51]
	v_add_f64_e64 v[50:51], v[54:55], -v[74:75]
	v_add_f64_e32 v[54:55], v[74:75], v[54:55]
	v_add_f64_e32 v[74:75], v[250:251], v[254:255]
	scratch_load_b128 v[250:253], off, off offset:260 th:TH_LOAD_LU ; 16-byte Folded Reload
	v_add_f64_e64 v[16:17], v[28:29], -v[90:91]
	v_add_f64_e32 v[28:29], v[90:91], v[28:29]
	v_add_f64_e64 v[68:69], v[122:123], -v[172:173]
	v_add_f64_e64 v[90:91], v[150:151], -v[246:247]
	;; [unrolled: 1-line block ×3, first 2 shown]
	v_mul_f64_e32 v[150:151], s[20:21], v[184:185]
	v_add_f64_e32 v[172:173], v[212:213], v[224:225]
	v_add_f64_e64 v[184:185], v[212:213], -v[210:211]
	v_add_f64_e64 v[206:207], v[216:217], -v[218:219]
	;; [unrolled: 1-line block ×4, first 2 shown]
	v_fma_f64 v[212:213], v[152:153], s[10:11], -v[112:113]
	v_fma_f64 v[152:153], v[152:153], s[4:5], v[162:163]
	v_add_f64_e64 v[246:247], v[128:129], -v[110:111]
	v_fma_f64 v[162:163], v[170:171], s[2:3], -v[162:163]
	v_add_f64_e64 v[170:171], v[178:179], -v[132:133]
	v_add_f64_e64 v[78:79], v[2:3], -v[82:83]
	v_add_f64_e32 v[82:83], v[82:83], v[2:3]
	ds_load_2addr_b64 v[0:3], v108 offset1:49
	v_add_f64_e64 v[196:197], v[100:101], -v[196:197]
	v_add_f64_e64 v[202:203], v[204:205], -v[202:203]
	v_mul_f64_e32 v[210:211], s[16:17], v[164:165]
	v_fma_f64 v[138:139], v[114:115], s[10:11], -v[138:139]
	v_add_f64_e64 v[118:119], v[120:121], -v[118:119]
	v_add_f64_e32 v[100:101], v[100:101], v[166:167]
	v_add_f64_e64 v[166:167], v[214:215], -v[216:217]
	v_add_f64_e64 v[120:121], v[132:133], -v[176:177]
	v_add_f64_e32 v[176:177], v[176:177], v[178:179]
	v_add_f64_e64 v[128:129], v[130:131], -v[128:129]
	v_mul_f64_e32 v[190:191], s[20:21], v[190:191]
	v_mul_f64_e32 v[244:245], s[2:3], v[142:143]
	v_fma_f64 v[134:135], v[134:135], s[18:19], v[104:105]
	v_fma_f64 v[142:143], v[142:143], s[2:3], -v[238:239]
	v_add_f64_e32 v[160:161], v[160:161], v[4:5]
	v_add_f64_e32 v[188:189], v[188:189], v[192:193]
	;; [unrolled: 1-line block ×3, first 2 shown]
	s_wait_dscnt 0x0
	v_add_f64_e32 v[112:113], v[2:3], v[168:169]
	v_add_f64_e32 v[2:3], v[146:147], v[156:157]
	v_mul_f64_e32 v[204:205], s[16:17], v[122:123]
	v_fma_f64 v[248:249], v[114:115], s[4:5], v[150:151]
	v_fma_f64 v[10:11], v[10:11], s[2:3], -v[150:151]
	v_mul_f64_e32 v[150:151], s[22:23], v[184:185]
	v_add_f64_e32 v[184:185], v[214:215], v[186:187]
	v_mul_f64_e32 v[186:187], s[2:3], v[198:199]
	v_mul_f64_e32 v[206:207], s[20:21], v[206:207]
	v_add_f64_e32 v[214:215], v[102:103], v[116:117]
	v_mul_f64_e32 v[216:217], s[20:21], v[218:219]
	v_mul_f64_e32 v[218:219], s[16:17], v[126:127]
	;; [unrolled: 1-line block ×4, first 2 shown]
	v_fma_f64 v[122:123], v[122:123], s[16:17], v[144:145]
	v_fma_f64 v[162:163], v[242:243], s[0:1], v[162:163]
	;; [unrolled: 1-line block ×3, first 2 shown]
	v_fma_f64 v[144:145], v[202:203], s[12:13], -v[144:145]
	v_fma_f64 v[210:211], v[208:209], s[14:15], -v[210:211]
	v_add_f64_e32 v[132:133], v[132:133], v[176:177]
	v_fma_f64 v[244:245], v[196:197], s[10:11], -v[244:245]
	v_fma_f64 v[196:197], v[196:197], s[4:5], v[238:239]
	v_fma_f64 v[204:205], v[202:203], s[14:15], -v[204:205]
	v_fma_f64 v[202:203], v[240:241], s[0:1], v[232:233]
	v_add_f64_e32 v[232:233], v[96:97], v[4:5]
	v_fma_f64 v[96:97], v[168:169], s[18:19], v[112:113]
	v_fma_f64 v[164:165], v[164:165], s[16:17], v[150:151]
	v_fma_f64 v[150:151], v[208:209], s[12:13], -v[150:151]
	v_fma_f64 v[198:199], v[198:199], s[2:3], -v[206:207]
	v_add_f64_e32 v[4:5], v[124:125], v[4:5]
	v_fma_f64 v[124:125], v[240:241], s[0:1], v[234:235]
	v_fma_f64 v[218:219], v[118:119], s[14:15], -v[218:219]
	v_fma_f64 v[176:177], v[128:129], s[14:15], -v[178:179]
	v_fma_f64 v[178:179], v[98:99], s[0:1], v[248:249]
	v_fma_f64 v[10:11], v[98:99], s[0:1], v[10:11]
	;; [unrolled: 1-line block ×4, first 2 shown]
	v_add_f64_e32 v[204:205], v[204:205], v[96:97]
	v_add_f64_e32 v[238:239], v[144:145], v[96:97]
	;; [unrolled: 1-line block ×3, first 2 shown]
	v_fma_f64 v[198:199], v[184:185], s[0:1], v[198:199]
	s_wait_loadcnt 0x2
	v_add_nc_u32_e32 v108, 49, v8
	s_wait_loadcnt 0x1
	v_add_f64_e64 v[236:237], v[116:117], -v[6:7]
	v_add_f64_e64 v[102:103], v[6:7], -v[102:103]
	v_add_f64_e32 v[116:117], v[0:1], v[174:175]
	v_mul_f64_e32 v[0:1], s[22:23], v[220:221]
	v_mul_f64_e32 v[220:221], s[22:23], v[224:225]
	v_add_f64_e32 v[208:209], v[6:7], v[214:215]
	s_wait_loadcnt 0x0
	v_add_f64_e32 v[110:111], v[252:253], v[172:173]
	v_add_f64_e32 v[114:115], v[250:251], v[182:183]
	v_mul_f64_e32 v[224:225], s[2:3], v[236:237]
	v_fma_f64 v[174:175], v[174:175], s[18:19], v[116:117]
	v_fma_f64 v[126:127], v[126:127], s[16:17], v[0:1]
	;; [unrolled: 1-line block ×3, first 2 shown]
	v_fma_f64 v[0:1], v[118:119], s[12:13], -v[0:1]
	v_fma_f64 v[118:119], v[236:237], s[2:3], -v[216:217]
	;; [unrolled: 1-line block ×3, first 2 shown]
	v_add_f64_e32 v[220:221], v[136:137], v[134:135]
	v_fma_f64 v[168:169], v[172:173], s[18:19], v[110:111]
	v_fma_f64 v[172:173], v[166:167], s[10:11], -v[186:187]
	v_fma_f64 v[166:167], v[166:167], s[4:5], v[206:207]
	v_fma_f64 v[206:207], v[102:103], s[4:5], v[216:217]
	;; [unrolled: 1-line block ×4, first 2 shown]
	v_fma_f64 v[120:121], v[120:121], s[10:11], -v[130:131]
	v_fma_f64 v[130:131], v[170:171], s[2:3], -v[190:191]
	v_add_f64_e32 v[170:171], v[230:231], v[134:135]
	v_fma_f64 v[186:187], v[240:241], s[0:1], v[226:227]
	v_fma_f64 v[190:191], v[242:243], s[0:1], v[212:213]
	v_add_f64_e32 v[212:213], v[140:141], v[192:193]
	v_add_f64_e32 v[192:193], v[228:229], v[134:135]
	v_add_f64_e32 v[226:227], v[122:123], v[96:97]
	v_fma_f64 v[102:103], v[102:103], s[10:11], -v[224:225]
	v_fma_f64 v[240:241], v[100:101], s[0:1], v[142:143]
	v_add_f64_e32 v[218:219], v[218:219], v[174:175]
	v_add_f64_e32 v[100:101], v[124:125], v[4:5]
	v_fma_f64 v[224:225], v[98:99], s[0:1], v[138:139]
	v_add_f64_e32 v[244:245], v[0:1], v[174:175]
	v_add_f64_e32 v[98:99], v[222:223], v[180:181]
	v_add_f64_e64 v[140:141], v[188:189], -v[162:163]
	v_add_f64_e64 v[0:1], v[160:161], -v[202:203]
	v_add_f64_e32 v[228:229], v[164:165], v[168:169]
	v_fma_f64 v[236:237], v[184:185], s[0:1], v[172:173]
	v_fma_f64 v[230:231], v[184:185], s[0:1], v[166:167]
	;; [unrolled: 1-line block ×3, first 2 shown]
	v_add_f64_e32 v[184:185], v[126:127], v[174:175]
	v_add_f64_e32 v[214:215], v[214:215], v[182:183]
	v_fma_f64 v[216:217], v[132:133], s[0:1], v[216:217]
	v_add_f64_e32 v[246:247], v[176:177], v[182:183]
	v_fma_f64 v[248:249], v[132:133], s[0:1], v[120:121]
	;; [unrolled: 2-line block ×3, first 2 shown]
	v_add_f64_e32 v[210:211], v[210:211], v[168:169]
	v_add_f64_e32 v[242:243], v[150:151], v[168:169]
	v_add_f64_e64 v[130:131], v[170:171], -v[178:179]
	v_fma_f64 v[206:207], v[208:209], s[0:1], v[102:103]
	v_fma_f64 v[208:209], v[208:209], s[0:1], v[118:119]
	v_add_f64_e64 v[118:119], v[4:5], -v[124:125]
	v_mul_hi_u32 v4, 0xbf112a8b, v8
	v_add_f64_e64 v[124:125], v[180:181], -v[222:223]
	v_add_f64_e32 v[150:151], v[178:179], v[170:171]
	v_add_f64_e64 v[96:97], v[232:233], -v[186:187]
	v_add_f64_e32 v[122:123], v[186:187], v[232:233]
	v_add_f64_e64 v[102:103], v[158:159], -v[148:149]
	v_add_f64_e32 v[120:121], v[148:149], v[158:159]
	v_add_f64_e32 v[136:137], v[190:191], v[212:213]
	v_lshrrev_b32_e32 v4, 8, v4
	v_add_f64_e64 v[148:149], v[212:213], -v[190:191]
	v_mul_hi_u32 v190, 0xbf112a8b, v108
	v_add_f64_e32 v[138:139], v[10:11], v[192:193]
	v_add_f64_e64 v[142:143], v[192:193], -v[10:11]
	v_mul_u32_u24_e32 v10, 0x157, v4
	v_lshlrev_b64_e32 v[4:5], 4, v[194:195]
	v_add_f64_e64 v[128:129], v[156:157], -v[146:147]
	v_add_f64_e32 v[126:127], v[202:203], v[160:161]
	v_add_f64_e32 v[156:157], v[196:197], v[226:227]
	v_add_f64_e64 v[196:197], v[226:227], -v[196:197]
	v_sub_nc_u32_e32 v191, v8, v10
	v_lshrrev_b32_e32 v202, 8, v190
	v_lshlrev_b64_e32 v[10:11], 4, v[200:201]
	v_add_co_u32 v4, vcc_lo, s6, v4
	v_add_f64_e32 v[194:195], v[230:231], v[228:229]
	v_add_f64_e32 v[168:169], v[166:167], v[184:185]
	v_add_f64_e64 v[184:185], v[184:185], -v[166:167]
	v_add_f64_e32 v[182:183], v[216:217], v[214:215]
	v_add_f64_e64 v[166:167], v[214:215], -v[216:217]
	;; [unrolled: 2-line block ×3, first 2 shown]
	v_add_f64_e64 v[174:175], v[250:251], -v[252:253]
	v_add_f64_e32 v[186:187], v[252:253], v[250:251]
	s_wait_alu 0xfffd
	v_add_co_ci_u32_e32 v5, vcc_lo, s7, v5, vcc_lo
	v_add_f64_e64 v[180:181], v[218:219], -v[206:207]
	v_add_f64_e32 v[176:177], v[208:209], v[244:245]
	v_add_f64_e64 v[188:189], v[244:245], -v[208:209]
	v_add_f64_e32 v[172:173], v[206:207], v[218:219]
	v_lshlrev_b32_e32 v190, 4, v191
	v_mul_u32_u24_e32 v191, 0x157, v202
	v_add_co_u32 v4, vcc_lo, v4, v10
	s_wait_alu 0xfffd
	v_add_co_ci_u32_e32 v5, vcc_lo, v5, v11, vcc_lo
	s_delay_alu instid0(VALU_DEP_3) | instskip(NEXT) | instid1(VALU_DEP_3)
	v_sub_nc_u32_e32 v108, v108, v191
	v_add_co_u32 v10, vcc_lo, v4, v190
	s_wait_alu 0xfffd
	s_delay_alu instid0(VALU_DEP_3) | instskip(NEXT) | instid1(VALU_DEP_3)
	v_add_co_ci_u32_e32 v11, vcc_lo, 0, v5, vcc_lo
	v_mad_u32_u24 v108, 0x961, v202, v108
	v_add_f64_e32 v[162:163], v[198:199], v[242:243]
	v_add_f64_e64 v[190:191], v[242:243], -v[198:199]
	v_add_f64_e64 v[200:201], v[204:205], -v[234:235]
	v_add_f64_e32 v[198:199], v[236:237], v[210:211]
	v_add_f64_e32 v[192:193], v[240:241], v[238:239]
	s_clause 0x3
	global_store_b128 v[10:11], v[114:117], off
	global_store_b128 v[10:11], v[182:185], off offset:5488
	global_store_b128 v[10:11], v[178:181], off offset:10976
	;; [unrolled: 1-line block ×3, first 2 shown]
	v_dual_mov_b32 v115, v109 :: v_dual_add_nc_u32 v114, 0x157, v108
	v_lshlrev_b64_e32 v[116:117], 4, v[108:109]
	s_clause 0x2
	global_store_b128 v[10:11], v[186:189], off offset:21952
	global_store_b128 v[10:11], v[170:173], off offset:27440
	;; [unrolled: 1-line block ×3, first 2 shown]
	v_add_nc_u32_e32 v168, 0x62, v8
	v_add_nc_u32_e32 v166, 0x405, v108
	v_lshlrev_b64_e32 v[10:11], 4, v[114:115]
	v_mov_b32_e32 v167, v109
	v_add_co_u32 v114, vcc_lo, v4, v116
	s_wait_alu 0xfffd
	v_add_co_ci_u32_e32 v115, vcc_lo, v5, v117, vcc_lo
	s_delay_alu instid0(VALU_DEP_4)
	v_add_co_u32 v10, vcc_lo, v4, v10
	s_wait_alu 0xfffd
	v_add_co_ci_u32_e32 v11, vcc_lo, v5, v11, vcc_lo
	v_dual_mov_b32 v117, v109 :: v_dual_add_nc_u32 v116, 0x2ae, v108
	s_clause 0x1
	global_store_b128 v[114:115], v[110:113], off
	global_store_b128 v[10:11], v[194:197], off
	v_mov_b32_e32 v115, v109
	v_mul_hi_u32 v114, 0xbf112a8b, v168
	v_mov_b32_e32 v113, v109
	v_lshlrev_b64_e32 v[116:117], 4, v[116:117]
	v_lshlrev_b64_e32 v[10:11], 4, v[166:167]
	v_add_f64_e64 v[164:165], v[238:239], -v[240:241]
	v_add_f64_e32 v[160:161], v[234:235], v[204:205]
	v_add_f64_e64 v[158:159], v[210:211], -v[236:237]
	v_add_f64_e32 v[132:133], v[152:153], v[154:155]
	v_add_co_u32 v110, vcc_lo, v4, v116
	v_lshrrev_b32_e32 v116, 8, v114
	v_add_f64_e64 v[152:153], v[154:155], -v[152:153]
	v_add_f64_e64 v[154:155], v[228:229], -v[230:231]
	s_wait_alu 0xfffd
	v_add_co_ci_u32_e32 v111, vcc_lo, v5, v117, vcc_lo
	v_add_co_u32 v10, vcc_lo, v4, v10
	v_add_nc_u32_e32 v112, 0x55c, v108
	v_add_nc_u32_e32 v114, 0x6b3, v108
	v_mul_u32_u24_e32 v117, 0x157, v116
	s_wait_alu 0xfffd
	v_add_co_ci_u32_e32 v11, vcc_lo, v5, v11, vcc_lo
	s_clause 0x1
	global_store_b128 v[110:111], v[198:201], off
	global_store_b128 v[10:11], v[190:193], off
	v_lshlrev_b64_e32 v[10:11], 4, v[114:115]
	v_sub_nc_u32_e32 v114, v168, v117
	v_mov_b32_e32 v117, v109
	v_lshlrev_b64_e32 v[112:113], 4, v[112:113]
	v_add_nc_u32_e32 v108, 0x80a, v108
	v_add_f64_e32 v[146:147], v[224:225], v[220:221]
	v_add_f64_e64 v[134:135], v[220:221], -v[224:225]
	s_delay_alu instid0(VALU_DEP_4)
	v_add_co_u32 v110, vcc_lo, v4, v112
	s_wait_alu 0xfffd
	v_add_co_ci_u32_e32 v111, vcc_lo, v5, v113, vcc_lo
	v_lshlrev_b64_e32 v[112:113], 4, v[108:109]
	v_mad_u32_u24 v108, 0x961, v116, v114
	v_add_co_u32 v10, vcc_lo, v4, v10
	s_wait_alu 0xfffd
	v_add_co_ci_u32_e32 v11, vcc_lo, v5, v11, vcc_lo
	s_delay_alu instid0(VALU_DEP_3)
	v_add_nc_u32_e32 v116, 0x157, v108
	v_lshlrev_b64_e32 v[114:115], 4, v[108:109]
	v_add_co_u32 v112, vcc_lo, v4, v112
	s_wait_alu 0xfffd
	v_add_co_ci_u32_e32 v113, vcc_lo, v5, v113, vcc_lo
	v_lshlrev_b64_e32 v[116:117], 4, v[116:117]
	s_delay_alu instid0(VALU_DEP_4) | instskip(SKIP_3) | instid1(VALU_DEP_4)
	v_add_co_u32 v114, vcc_lo, v4, v114
	s_wait_alu 0xfffd
	v_add_co_ci_u32_e32 v115, vcc_lo, v5, v115, vcc_lo
	v_add_nc_u32_e32 v166, 0x2ae, v108
	v_add_co_u32 v116, vcc_lo, v4, v116
	s_wait_alu 0xfffd
	v_add_co_ci_u32_e32 v117, vcc_lo, v5, v117, vcc_lo
	s_clause 0x4
	global_store_b128 v[110:111], v[162:165], off
	global_store_b128 v[10:11], v[158:161], off
	;; [unrolled: 1-line block ×5, first 2 shown]
	v_dual_mov_b32 v105, v109 :: v_dual_add_nc_u32 v104, 0x405, v108
	v_lshlrev_b64_e32 v[10:11], 4, v[166:167]
	v_dual_mov_b32 v107, v109 :: v_dual_add_nc_u32 v106, 0x55c, v108
	v_add_nc_u32_e32 v110, 0x6b3, v108
	s_delay_alu instid0(VALU_DEP_4)
	v_lshlrev_b64_e32 v[104:105], 4, v[104:105]
	v_mov_b32_e32 v111, v109
	v_add_co_u32 v10, vcc_lo, v4, v10
	v_lshlrev_b64_e32 v[106:107], 4, v[106:107]
	s_wait_alu 0xfffd
	v_add_co_ci_u32_e32 v11, vcc_lo, v5, v11, vcc_lo
	v_add_co_u32 v104, vcc_lo, v4, v104
	v_lshlrev_b64_e32 v[110:111], 4, v[110:111]
	s_wait_alu 0xfffd
	v_add_co_ci_u32_e32 v105, vcc_lo, v5, v105, vcc_lo
	v_add_co_u32 v106, vcc_lo, v4, v106
	v_add_nc_u32_e32 v112, 0x93, v8
	s_wait_alu 0xfffd
	v_add_co_ci_u32_e32 v107, vcc_lo, v5, v107, vcc_lo
	v_add_co_u32 v110, vcc_lo, v4, v110
	s_wait_alu 0xfffd
	v_add_co_ci_u32_e32 v111, vcc_lo, v5, v111, vcc_lo
	s_clause 0x3
	global_store_b128 v[10:11], v[146:149], off
	global_store_b128 v[104:105], v[142:145], off
	;; [unrolled: 1-line block ×4, first 2 shown]
	v_mov_b32_e32 v111, v109
	v_mul_hi_u32 v113, 0xbf112a8b, v112
	v_dual_mov_b32 v105, v109 :: v_dual_add_nc_u32 v108, 0x80a, v108
	s_delay_alu instid0(VALU_DEP_2) | instskip(NEXT) | instid1(VALU_DEP_1)
	v_lshrrev_b32_e32 v114, 8, v113
	v_mul_u32_u24_e32 v113, 0x157, v114
	s_delay_alu instid0(VALU_DEP_1) | instskip(NEXT) | instid1(VALU_DEP_4)
	v_sub_nc_u32_e32 v115, v112, v113
	v_lshlrev_b64_e32 v[112:113], 4, v[108:109]
	s_delay_alu instid0(VALU_DEP_2) | instskip(NEXT) | instid1(VALU_DEP_2)
	v_mad_u32_u24 v108, 0x961, v114, v115
	v_add_co_u32 v106, vcc_lo, v4, v112
	s_wait_alu 0xfffd
	s_delay_alu instid0(VALU_DEP_3) | instskip(NEXT) | instid1(VALU_DEP_3)
	v_add_co_ci_u32_e32 v107, vcc_lo, v5, v113, vcc_lo
	v_add_nc_u32_e32 v104, 0x157, v108
	v_lshlrev_b64_e32 v[10:11], 4, v[108:109]
	v_add_nc_u32_e32 v110, 0x2ae, v108
	global_store_b128 v[106:107], v[130:133], off
	v_add_nc_u32_e32 v112, 0x405, v108
	v_lshlrev_b64_e32 v[104:105], 4, v[104:105]
	v_mov_b32_e32 v113, v109
	v_add_co_u32 v10, vcc_lo, v4, v10
	s_wait_alu 0xfffd
	v_add_co_ci_u32_e32 v11, vcc_lo, v5, v11, vcc_lo
	s_delay_alu instid0(VALU_DEP_4)
	v_add_co_u32 v104, vcc_lo, v4, v104
	v_lshlrev_b64_e32 v[106:107], 4, v[110:111]
	v_add_nc_u32_e32 v110, 0xc4, v8
	s_wait_alu 0xfffd
	v_add_co_ci_u32_e32 v105, vcc_lo, v5, v105, vcc_lo
	s_clause 0x1
	global_store_b128 v[10:11], v[92:95], off
	global_store_b128 v[104:105], v[126:129], off
	v_add_co_u32 v92, vcc_lo, v4, v106
	v_mul_hi_u32 v106, 0xbf112a8b, v110
	v_lshlrev_b64_e32 v[10:11], 4, v[112:113]
	s_wait_alu 0xfffd
	v_add_co_ci_u32_e32 v93, vcc_lo, v5, v107, vcc_lo
	v_dual_mov_b32 v105, v109 :: v_dual_add_nc_u32 v104, 0x6b3, v108
	v_add_nc_u32_e32 v94, 0x55c, v108
	s_delay_alu instid0(VALU_DEP_4)
	v_add_co_u32 v10, vcc_lo, v4, v10
	v_lshrrev_b32_e32 v106, 8, v106
	v_mov_b32_e32 v95, v109
	s_wait_alu 0xfffd
	v_add_co_ci_u32_e32 v11, vcc_lo, v5, v11, vcc_lo
	s_clause 0x1
	global_store_b128 v[92:93], v[122:125], off
	global_store_b128 v[10:11], v[118:121], off
	v_lshlrev_b64_e32 v[10:11], 4, v[104:105]
	v_mul_u32_u24_e32 v104, 0x157, v106
	v_lshlrev_b64_e32 v[94:95], 4, v[94:95]
	v_add_nc_u32_e32 v108, 0x80a, v108
	s_delay_alu instid0(VALU_DEP_3) | instskip(NEXT) | instid1(VALU_DEP_3)
	v_sub_nc_u32_e32 v104, v110, v104
	v_add_co_u32 v92, vcc_lo, v4, v94
	s_wait_alu 0xfffd
	s_delay_alu instid0(VALU_DEP_4)
	v_add_co_ci_u32_e32 v93, vcc_lo, v5, v95, vcc_lo
	v_lshlrev_b64_e32 v[94:95], 4, v[108:109]
	v_mad_u32_u24 v108, 0x961, v106, v104
	v_add_co_u32 v10, vcc_lo, v4, v10
	s_wait_alu 0xfffd
	v_add_co_ci_u32_e32 v11, vcc_lo, v5, v11, vcc_lo
	s_delay_alu instid0(VALU_DEP_4)
	v_add_co_u32 v94, vcc_lo, v4, v94
	v_add_nc_u32_e32 v104, 0x157, v108
	s_wait_alu 0xfffd
	v_add_co_ci_u32_e32 v95, vcc_lo, v5, v95, vcc_lo
	v_lshlrev_b64_e32 v[106:107], 4, v[108:109]
	s_clause 0x2
	global_store_b128 v[92:93], v[100:103], off
	global_store_b128 v[10:11], v[96:99], off
	;; [unrolled: 1-line block ×3, first 2 shown]
	v_lshlrev_b64_e32 v[0:1], 4, v[104:105]
	v_add_nc_u32_e32 v94, 0xf5, v8
	v_dual_mov_b32 v11, v109 :: v_dual_add_nc_u32 v10, 0x2ae, v108
	v_add_co_u32 v2, vcc_lo, v4, v106
	s_wait_alu 0xfffd
	v_add_co_ci_u32_e32 v3, vcc_lo, v5, v107, vcc_lo
	v_add_co_u32 v0, vcc_lo, v4, v0
	s_wait_alu 0xfffd
	v_add_co_ci_u32_e32 v1, vcc_lo, v5, v1, vcc_lo
	s_clause 0x1
	global_store_b128 v[2:3], v[60:63], off
	global_store_b128 v[0:1], v[88:91], off
	v_mul_hi_u32 v60, 0xbf112a8b, v94
	v_dual_mov_b32 v93, v109 :: v_dual_add_nc_u32 v92, 0x405, v108
	v_lshlrev_b64_e32 v[10:11], 4, v[10:11]
	v_mov_b32_e32 v61, v109
	s_delay_alu instid0(VALU_DEP_3) | instskip(SKIP_1) | instid1(VALU_DEP_4)
	v_lshlrev_b64_e32 v[0:1], 4, v[92:93]
	v_lshrrev_b32_e32 v62, 8, v60
	v_add_co_u32 v2, vcc_lo, v4, v10
	s_wait_alu 0xfffd
	v_add_co_ci_u32_e32 v3, vcc_lo, v5, v11, vcc_lo
	v_dual_mov_b32 v11, v109 :: v_dual_add_nc_u32 v10, 0x55c, v108
	v_add_co_u32 v0, vcc_lo, v4, v0
	v_add_nc_u32_e32 v60, 0x6b3, v108
	v_mul_u32_u24_e32 v63, 0x157, v62
	s_wait_alu 0xfffd
	v_add_co_ci_u32_e32 v1, vcc_lo, v5, v1, vcc_lo
	v_lshlrev_b64_e32 v[10:11], 4, v[10:11]
	s_clause 0x1
	global_store_b128 v[2:3], v[84:87], off
	global_store_b128 v[0:1], v[80:83], off
	v_lshlrev_b64_e32 v[0:1], 4, v[60:61]
	v_add_nc_u32_e32 v108, 0x80a, v108
	v_sub_nc_u32_e32 v60, v94, v63
	v_add_co_u32 v2, vcc_lo, v4, v10
	s_wait_alu 0xfffd
	v_add_co_ci_u32_e32 v3, vcc_lo, v5, v11, vcc_lo
	v_lshlrev_b64_e32 v[10:11], 4, v[108:109]
	v_mad_u32_u24 v108, 0x961, v62, v60
	v_mov_b32_e32 v63, v109
	v_add_co_u32 v0, vcc_lo, v4, v0
	s_wait_alu 0xfffd
	v_add_co_ci_u32_e32 v1, vcc_lo, v5, v1, vcc_lo
	v_add_nc_u32_e32 v62, 0x157, v108
	v_lshlrev_b64_e32 v[60:61], 4, v[108:109]
	v_add_co_u32 v10, vcc_lo, v4, v10
	s_wait_alu 0xfffd
	v_add_co_ci_u32_e32 v11, vcc_lo, v5, v11, vcc_lo
	v_lshlrev_b64_e32 v[62:63], 4, v[62:63]
	s_delay_alu instid0(VALU_DEP_4) | instskip(SKIP_3) | instid1(VALU_DEP_4)
	v_add_co_u32 v60, vcc_lo, v4, v60
	s_wait_alu 0xfffd
	v_add_co_ci_u32_e32 v61, vcc_lo, v5, v61, vcc_lo
	v_add_nc_u32_e32 v80, 0x2ae, v108
	v_add_co_u32 v62, vcc_lo, v4, v62
	s_wait_alu 0xfffd
	v_add_co_ci_u32_e32 v63, vcc_lo, v5, v63, vcc_lo
	s_clause 0x4
	global_store_b128 v[2:3], v[76:79], off
	global_store_b128 v[0:1], v[72:75], off
	;; [unrolled: 1-line block ×5, first 2 shown]
	v_dual_mov_b32 v81, v109 :: v_dual_add_nc_u32 v42, 0x126, v8
	v_dual_mov_b32 v3, v109 :: v_dual_add_nc_u32 v2, 0x405, v108
	v_add_nc_u32_e32 v10, 0x55c, v108
	s_delay_alu instid0(VALU_DEP_3) | instskip(NEXT) | instid1(VALU_DEP_4)
	v_mul_hi_u32 v43, 0xbf112a8b, v42
	v_lshlrev_b64_e32 v[0:1], 4, v[80:81]
	v_mov_b32_e32 v11, v109
	v_lshlrev_b64_e32 v[2:3], 4, v[2:3]
	v_dual_mov_b32 v41, v109 :: v_dual_add_nc_u32 v40, 0x6b3, v108
	v_add_nc_u32_e32 v108, 0x80a, v108
	v_add_co_u32 v0, vcc_lo, v4, v0
	v_lshrrev_b32_e32 v60, 8, v43
	v_lshlrev_b64_e32 v[10:11], 4, v[10:11]
	s_wait_alu 0xfffd
	v_add_co_ci_u32_e32 v1, vcc_lo, v5, v1, vcc_lo
	v_add_co_u32 v2, vcc_lo, v4, v2
	v_mul_u32_u24_e32 v43, 0x157, v60
	v_lshlrev_b64_e32 v[40:41], 4, v[40:41]
	s_wait_alu 0xfffd
	v_add_co_ci_u32_e32 v3, vcc_lo, v5, v3, vcc_lo
	v_add_co_u32 v10, vcc_lo, v4, v10
	v_sub_nc_u32_e32 v61, v42, v43
	s_wait_alu 0xfffd
	v_add_co_ci_u32_e32 v11, vcc_lo, v5, v11, vcc_lo
	v_lshlrev_b64_e32 v[42:43], 4, v[108:109]
	v_add_co_u32 v40, vcc_lo, v4, v40
	v_mad_u32_u24 v108, 0x961, v60, v61
	s_wait_alu 0xfffd
	v_add_co_ci_u32_e32 v41, vcc_lo, v5, v41, vcc_lo
	s_clause 0x3
	global_store_b128 v[0:1], v[56:59], off
	global_store_b128 v[2:3], v[52:55], off
	;; [unrolled: 1-line block ×4, first 2 shown]
	v_dual_mov_b32 v3, v109 :: v_dual_add_nc_u32 v2, 0x157, v108
	v_lshlrev_b64_e32 v[0:1], 4, v[108:109]
	v_add_co_u32 v10, vcc_lo, v4, v42
	s_wait_alu 0xfffd
	v_add_co_ci_u32_e32 v11, vcc_lo, v5, v43, vcc_lo
	v_lshlrev_b64_e32 v[2:3], 4, v[2:3]
	s_delay_alu instid0(VALU_DEP_4) | instskip(SKIP_3) | instid1(VALU_DEP_4)
	v_add_co_u32 v0, vcc_lo, v4, v0
	s_wait_alu 0xfffd
	v_add_co_ci_u32_e32 v1, vcc_lo, v5, v1, vcc_lo
	v_dual_mov_b32 v41, v109 :: v_dual_add_nc_u32 v40, 0x2ae, v108
	v_add_co_u32 v2, vcc_lo, v4, v2
	s_wait_alu 0xfffd
	v_add_co_ci_u32_e32 v3, vcc_lo, v5, v3, vcc_lo
	v_dual_mov_b32 v43, v109 :: v_dual_add_nc_u32 v42, 0x405, v108
	global_store_b128 v[10:11], v[36:39], off
	v_lshlrev_b64_e32 v[10:11], 4, v[40:41]
	s_clause 0x1
	global_store_b128 v[0:1], v[12:15], off
	global_store_b128 v[2:3], v[32:35], off
	v_dual_mov_b32 v13, v109 :: v_dual_add_nc_u32 v2, 0x55c, v108
	v_mov_b32_e32 v3, v109
	v_lshlrev_b64_e32 v[0:1], 4, v[42:43]
	v_add_nc_u32_e32 v12, 0x6b3, v108
	v_add_co_u32 v10, vcc_lo, v4, v10
	s_delay_alu instid0(VALU_DEP_4)
	v_lshlrev_b64_e32 v[2:3], 4, v[2:3]
	s_wait_alu 0xfffd
	v_add_co_ci_u32_e32 v11, vcc_lo, v5, v11, vcc_lo
	v_add_co_u32 v0, vcc_lo, v4, v0
	v_lshlrev_b64_e32 v[12:13], 4, v[12:13]
	s_wait_alu 0xfffd
	v_add_co_ci_u32_e32 v1, vcc_lo, v5, v1, vcc_lo
	v_add_co_u32 v2, vcc_lo, v4, v2
	s_wait_alu 0xfffd
	v_add_co_ci_u32_e32 v3, vcc_lo, v5, v3, vcc_lo
	v_add_co_u32 v12, vcc_lo, v4, v12
	s_wait_alu 0xfffd
	v_add_co_ci_u32_e32 v13, vcc_lo, v5, v13, vcc_lo
	s_clause 0x3
	global_store_b128 v[10:11], v[28:31], off
	global_store_b128 v[0:1], v[24:27], off
	;; [unrolled: 1-line block ×4, first 2 shown]
	scratch_load_b128 v[0:3], off, off th:TH_LOAD_LU ; 16-byte Folded Reload
	v_add_nc_u32_e32 v108, 0x80a, v108
	s_delay_alu instid0(VALU_DEP_1) | instskip(NEXT) | instid1(VALU_DEP_1)
	v_lshlrev_b64_e32 v[14:15], 4, v[108:109]
	v_add_co_u32 v4, vcc_lo, v4, v14
	s_wait_alu 0xfffd
	s_delay_alu instid0(VALU_DEP_2)
	v_add_co_ci_u32_e32 v5, vcc_lo, v5, v15, vcc_lo
	s_wait_loadcnt 0x0
	global_store_b128 v[4:5], v[0:3], off
.LBB0_15:
	s_endpgm
	.section	.rodata,"a",@progbits
	.p2align	6, 0x0
	.amdhsa_kernel fft_rtc_fwd_len2401_factors_7_7_7_7_wgs_49_tpt_49_halfLds_dp_op_CI_CI_unitstride_sbrr_dirReg
		.amdhsa_group_segment_fixed_size 0
		.amdhsa_private_segment_fixed_size 472
		.amdhsa_kernarg_size 104
		.amdhsa_user_sgpr_count 2
		.amdhsa_user_sgpr_dispatch_ptr 0
		.amdhsa_user_sgpr_queue_ptr 0
		.amdhsa_user_sgpr_kernarg_segment_ptr 1
		.amdhsa_user_sgpr_dispatch_id 0
		.amdhsa_user_sgpr_private_segment_size 0
		.amdhsa_wavefront_size32 1
		.amdhsa_uses_dynamic_stack 0
		.amdhsa_enable_private_segment 1
		.amdhsa_system_sgpr_workgroup_id_x 1
		.amdhsa_system_sgpr_workgroup_id_y 0
		.amdhsa_system_sgpr_workgroup_id_z 0
		.amdhsa_system_sgpr_workgroup_info 0
		.amdhsa_system_vgpr_workitem_id 0
		.amdhsa_next_free_vgpr 256
		.amdhsa_next_free_sgpr 39
		.amdhsa_reserve_vcc 1
		.amdhsa_float_round_mode_32 0
		.amdhsa_float_round_mode_16_64 0
		.amdhsa_float_denorm_mode_32 3
		.amdhsa_float_denorm_mode_16_64 3
		.amdhsa_fp16_overflow 0
		.amdhsa_workgroup_processor_mode 1
		.amdhsa_memory_ordered 1
		.amdhsa_forward_progress 0
		.amdhsa_round_robin_scheduling 0
		.amdhsa_exception_fp_ieee_invalid_op 0
		.amdhsa_exception_fp_denorm_src 0
		.amdhsa_exception_fp_ieee_div_zero 0
		.amdhsa_exception_fp_ieee_overflow 0
		.amdhsa_exception_fp_ieee_underflow 0
		.amdhsa_exception_fp_ieee_inexact 0
		.amdhsa_exception_int_div_zero 0
	.end_amdhsa_kernel
	.text
.Lfunc_end0:
	.size	fft_rtc_fwd_len2401_factors_7_7_7_7_wgs_49_tpt_49_halfLds_dp_op_CI_CI_unitstride_sbrr_dirReg, .Lfunc_end0-fft_rtc_fwd_len2401_factors_7_7_7_7_wgs_49_tpt_49_halfLds_dp_op_CI_CI_unitstride_sbrr_dirReg
                                        ; -- End function
	.section	.AMDGPU.csdata,"",@progbits
; Kernel info:
; codeLenInByte = 33076
; NumSgprs: 41
; NumVgprs: 256
; ScratchSize: 472
; MemoryBound: 1
; FloatMode: 240
; IeeeMode: 1
; LDSByteSize: 0 bytes/workgroup (compile time only)
; SGPRBlocks: 5
; VGPRBlocks: 31
; NumSGPRsForWavesPerEU: 41
; NumVGPRsForWavesPerEU: 256
; Occupancy: 5
; WaveLimiterHint : 1
; COMPUTE_PGM_RSRC2:SCRATCH_EN: 1
; COMPUTE_PGM_RSRC2:USER_SGPR: 2
; COMPUTE_PGM_RSRC2:TRAP_HANDLER: 0
; COMPUTE_PGM_RSRC2:TGID_X_EN: 1
; COMPUTE_PGM_RSRC2:TGID_Y_EN: 0
; COMPUTE_PGM_RSRC2:TGID_Z_EN: 0
; COMPUTE_PGM_RSRC2:TIDIG_COMP_CNT: 0
	.text
	.p2alignl 7, 3214868480
	.fill 96, 4, 3214868480
	.type	__hip_cuid_f9da665b3b3c200d,@object ; @__hip_cuid_f9da665b3b3c200d
	.section	.bss,"aw",@nobits
	.globl	__hip_cuid_f9da665b3b3c200d
__hip_cuid_f9da665b3b3c200d:
	.byte	0                               ; 0x0
	.size	__hip_cuid_f9da665b3b3c200d, 1

	.ident	"AMD clang version 19.0.0git (https://github.com/RadeonOpenCompute/llvm-project roc-6.4.0 25133 c7fe45cf4b819c5991fe208aaa96edf142730f1d)"
	.section	".note.GNU-stack","",@progbits
	.addrsig
	.addrsig_sym __hip_cuid_f9da665b3b3c200d
	.amdgpu_metadata
---
amdhsa.kernels:
  - .args:
      - .actual_access:  read_only
        .address_space:  global
        .offset:         0
        .size:           8
        .value_kind:     global_buffer
      - .offset:         8
        .size:           8
        .value_kind:     by_value
      - .actual_access:  read_only
        .address_space:  global
        .offset:         16
        .size:           8
        .value_kind:     global_buffer
      - .actual_access:  read_only
        .address_space:  global
        .offset:         24
        .size:           8
        .value_kind:     global_buffer
      - .actual_access:  read_only
        .address_space:  global
        .offset:         32
        .size:           8
        .value_kind:     global_buffer
      - .offset:         40
        .size:           8
        .value_kind:     by_value
      - .actual_access:  read_only
        .address_space:  global
        .offset:         48
        .size:           8
        .value_kind:     global_buffer
      - .actual_access:  read_only
        .address_space:  global
        .offset:         56
        .size:           8
        .value_kind:     global_buffer
      - .offset:         64
        .size:           4
        .value_kind:     by_value
      - .actual_access:  read_only
        .address_space:  global
        .offset:         72
        .size:           8
        .value_kind:     global_buffer
      - .actual_access:  read_only
        .address_space:  global
        .offset:         80
        .size:           8
        .value_kind:     global_buffer
      - .actual_access:  read_only
        .address_space:  global
        .offset:         88
        .size:           8
        .value_kind:     global_buffer
      - .actual_access:  write_only
        .address_space:  global
        .offset:         96
        .size:           8
        .value_kind:     global_buffer
    .group_segment_fixed_size: 0
    .kernarg_segment_align: 8
    .kernarg_segment_size: 104
    .language:       OpenCL C
    .language_version:
      - 2
      - 0
    .max_flat_workgroup_size: 49
    .name:           fft_rtc_fwd_len2401_factors_7_7_7_7_wgs_49_tpt_49_halfLds_dp_op_CI_CI_unitstride_sbrr_dirReg
    .private_segment_fixed_size: 472
    .sgpr_count:     41
    .sgpr_spill_count: 0
    .symbol:         fft_rtc_fwd_len2401_factors_7_7_7_7_wgs_49_tpt_49_halfLds_dp_op_CI_CI_unitstride_sbrr_dirReg.kd
    .uniform_work_group_size: 1
    .uses_dynamic_stack: false
    .vgpr_count:     256
    .vgpr_spill_count: 212
    .wavefront_size: 32
    .workgroup_processor_mode: 1
amdhsa.target:   amdgcn-amd-amdhsa--gfx1201
amdhsa.version:
  - 1
  - 2
...

	.end_amdgpu_metadata
